;; amdgpu-corpus repo=ROCm/rocBLAS kind=compiled arch=gfx1250 opt=O3
	.amdgcn_target "amdgcn-amd-amdhsa--gfx1250"
	.amdhsa_code_object_version 6
	.section	.text._ZL19rocblas_syr2_kernelILi128ELi8ELi2EPKfS1_PfEvbiT2_T3_lllS4_lllT4_llli,"axG",@progbits,_ZL19rocblas_syr2_kernelILi128ELi8ELi2EPKfS1_PfEvbiT2_T3_lllS4_lllT4_llli,comdat
	.globl	_ZL19rocblas_syr2_kernelILi128ELi8ELi2EPKfS1_PfEvbiT2_T3_lllS4_lllT4_llli ; -- Begin function _ZL19rocblas_syr2_kernelILi128ELi8ELi2EPKfS1_PfEvbiT2_T3_lllS4_lllT4_llli
	.p2align	8
	.type	_ZL19rocblas_syr2_kernelILi128ELi8ELi2EPKfS1_PfEvbiT2_T3_lllS4_lllT4_llli,@function
_ZL19rocblas_syr2_kernelILi128ELi8ELi2EPKfS1_PfEvbiT2_T3_lllS4_lllT4_llli: ; @_ZL19rocblas_syr2_kernelILi128ELi8ELi2EPKfS1_PfEvbiT2_T3_lllS4_lllT4_llli
; %bb.0:
	s_load_b64 s[2:3], s[0:1], 0x84
	s_wait_kmcnt 0x0
	s_lshr_b32 s4, s2, 16
	s_and_b32 s2, s2, 0xffff
	s_and_b32 s3, s3, 0xffff
	s_mul_i32 s2, s4, s2
	s_delay_alu instid0(SALU_CYCLE_1) | instskip(NEXT) | instid1(SALU_CYCLE_1)
	s_mul_i32 s2, s2, s3
	s_cmp_lg_u32 s2, 0x400
	s_cbranch_scc1 .LBB0_17
; %bb.1:
	s_load_b512 s[4:19], s[0:1], 0x8
	s_wait_kmcnt 0x0
	s_load_b32 s4, s[4:5], 0x0
	s_wait_kmcnt 0x0
	s_cmp_eq_f32 s4, 0
	s_cbranch_scc1 .LBB0_17
; %bb.2:
	s_load_b32 s30, s[0:1], 0x70
	s_bfe_u32 s2, ttmp6, 0x40014
	s_lshr_b32 s3, ttmp7, 16
	s_add_co_i32 s2, s2, 1
	s_bfe_u32 s20, ttmp6, 0x40008
	s_mul_i32 s2, s3, s2
	s_getreg_b32 s5, hwreg(HW_REG_IB_STS2, 6, 4)
	s_add_co_i32 s20, s20, s2
	s_cmp_eq_u32 s5, 0
	s_cselect_b32 s28, s3, s20
	s_wait_kmcnt 0x0
	s_cmp_ge_u32 s28, s30
	s_cbranch_scc1 .LBB0_17
; %bb.3:
	s_clause 0x1
	s_load_b64 s[2:3], s[0:1], 0x0
	s_load_b256 s[20:27], s[0:1], 0x48
	s_lshl_b64 s[34:35], s[8:9], 2
	s_lshl_b64 s[36:37], s[16:17], 2
	v_and_b32_e32 v1, 0x3ff, v0
	v_bfe_u32 v0, v0, 10, 10
	s_add_nc_u64 s[6:7], s[6:7], s[34:35]
	s_wait_kmcnt 0x0
	s_bitcmp1_b32 s2, 0
	s_cselect_b32 s2, -1, 0
	s_bfe_u32 s9, ttmp6, 0x40010
	s_bfe_u32 s31, ttmp6, 0x4000c
	s_and_b32 s8, ttmp7, 0xffff
	s_add_co_i32 s9, s9, 1
	s_add_co_i32 s31, s31, 1
	s_bfe_u32 s17, ttmp6, 0x40004
	s_and_b32 s29, ttmp6, 15
	s_xor_b32 s16, s2, -1
	s_mul_i32 s2, s8, s9
	s_mul_i32 s9, ttmp9, s31
	s_lshl_b64 s[26:27], s[26:27], 2
	s_add_co_i32 s17, s17, s2
	s_add_co_i32 s29, s29, s9
	s_cmp_eq_u32 s5, 0
	s_cselect_b32 s2, s8, s17
	s_cselect_b32 s5, ttmp9, s29
	v_lshl_add_u32 v14, s2, 3, v0
	v_lshl_add_u32 v0, s5, 8, v1
	s_load_b64 s[8:9], s[0:1], 0x68
	s_mov_b32 s29, 0
	s_mov_b32 s5, s4
	s_delay_alu instid0(VALU_DEP_1)
	v_dual_ashrrev_i32 v15, 31, v14 :: v_dual_ashrrev_i32 v1, 31, v0
	v_add_nc_u32_e32 v16, 0x80, v0
	v_cmp_gt_i32_e32 vcc_lo, s3, v0
	s_wait_xcnt 0x0
	v_cmp_le_i32_e64 s0, v14, v0
	v_mul_u64_e32 v[18:19], s[24:25], v[14:15]
	v_mul_u64_e32 v[2:3], s[18:19], v[14:15]
	v_ashrrev_i32_e32 v17, 31, v16
	v_mul_u64_e32 v[4:5], s[10:11], v[14:15]
	v_mul_u64_e32 v[6:7], s[10:11], v[0:1]
	;; [unrolled: 1-line block ×3, first 2 shown]
	v_cmp_gt_i32_e64 s1, s3, v14
	v_mul_u64_e32 v[10:11], s[10:11], v[16:17]
	v_mul_u64_e32 v[12:13], s[18:19], v[16:17]
	s_add_nc_u64 s[10:11], s[14:15], s[36:37]
	s_add_nc_u64 s[18:19], s[22:23], s[26:27]
	v_cmp_le_i32_e64 s2, v0, v14
	s_and_b32 s14, s0, vcc_lo
	v_cmp_gt_i32_e32 vcc_lo, s3, v16
	v_cmp_le_i32_e64 s0, v14, v16
	v_cmp_le_i32_e64 s3, v16, v14
	s_and_b32 s15, s2, s1
	s_and_b32 s17, vcc_lo, s0
	v_lshl_add_u64 v[14:15], v[18:19], 2, s[18:19]
	s_and_b32 s18, s1, s3
	s_branch .LBB0_5
.LBB0_4:                                ;   in Loop: Header=BB0_5 Depth=1
	s_wait_xcnt 0x0
	s_or_b32 exec_lo, exec_lo, s19
	s_add_co_i32 s28, s28, 0x10000
	s_delay_alu instid0(SALU_CYCLE_1)
	s_cmp_lt_u32 s28, s30
	s_cbranch_scc0 .LBB0_17
.LBB0_5:                                ; =>This Inner Loop Header: Depth=1
	s_and_b32 vcc_lo, exec_lo, s16
	s_mov_b32 s19, 0
	s_mov_b32 s0, -1
	s_cbranch_vccz .LBB0_7
; %bb.6:                                ;   in Loop: Header=BB0_5 Depth=1
	s_mov_b32 s0, 0
	s_and_b32 s19, s14, exec_lo
.LBB0_7:                                ;   in Loop: Header=BB0_5 Depth=1
	s_and_not1_b32 vcc_lo, exec_lo, s0
	s_cbranch_vccnz .LBB0_9
; %bb.8:                                ;   in Loop: Header=BB0_5 Depth=1
	s_and_not1_b32 s0, s19, exec_lo
	s_and_b32 s1, s15, exec_lo
	s_delay_alu instid0(SALU_CYCLE_1)
	s_or_b32 s19, s0, s1
.LBB0_9:                                ;   in Loop: Header=BB0_5 Depth=1
	s_mul_u64 s[0:1], s[20:21], s[28:29]
	s_mul_u64 s[2:3], s[12:13], s[28:29]
	s_lshl_b64 s[0:1], s[0:1], 2
	s_lshl_b64 s[2:3], s[2:3], 2
	s_wait_kmcnt 0x0
	s_mul_u64 s[22:23], s[8:9], s[28:29]
	s_add_nc_u64 s[0:1], s[10:11], s[0:1]
	s_add_nc_u64 s[2:3], s[6:7], s[2:3]
	v_lshl_add_u64 v[20:21], v[2:3], 2, s[0:1]
	v_lshl_add_u64 v[18:19], v[4:5], 2, s[2:3]
	;; [unrolled: 1-line block ×3, first 2 shown]
	s_and_saveexec_b32 s22, s19
	s_cbranch_execz .LBB0_11
; %bb.10:                               ;   in Loop: Header=BB0_5 Depth=1
	v_lshl_add_u64 v[22:23], v[6:7], 2, s[2:3]
	v_lshl_add_u64 v[24:25], v[8:9], 2, s[0:1]
	global_load_b32 v26, v[22:23], off
	s_clause 0x1
	global_load_b32 v27, v[24:25], off
	global_load_b32 v28, v[20:21], off
	;; [unrolled: 1-line block ×3, first 2 shown]
	s_wait_xcnt 0x3
	v_lshl_add_u64 v[22:23], v[0:1], 2, v[16:17]
	s_wait_xcnt 0x2
	v_mov_b64_e32 v[24:25], s[4:5]
	global_load_b32 v30, v[22:23], off
	s_wait_loadcnt 0x3
	v_pk_mul_f32 v[24:25], v[24:25], v[26:27]
	s_wait_loadcnt 0x1
	s_delay_alu instid0(VALU_DEP_1) | instskip(NEXT) | instid1(VALU_DEP_1)
	v_pk_mul_f32 v[24:25], v[24:25], v[28:29]
	v_add_f32_e32 v24, v24, v25
	s_wait_loadcnt 0x0
	s_delay_alu instid0(VALU_DEP_1)
	v_add_f32_e32 v24, v30, v24
	global_store_b32 v[22:23], v24, off
.LBB0_11:                               ;   in Loop: Header=BB0_5 Depth=1
	s_wait_xcnt 0x0
	s_or_b32 exec_lo, exec_lo, s22
	s_delay_alu instid0(SALU_CYCLE_1)
	s_and_not1_b32 vcc_lo, exec_lo, s16
	s_cbranch_vccnz .LBB0_16
; %bb.12:                               ;   in Loop: Header=BB0_5 Depth=1
	s_and_b32 s22, s17, exec_lo
	s_cbranch_execnz .LBB0_14
.LBB0_13:                               ;   in Loop: Header=BB0_5 Depth=1
	s_and_not1_b32 s19, s22, exec_lo
	s_and_b32 s22, s18, exec_lo
	s_delay_alu instid0(SALU_CYCLE_1)
	s_or_b32 s22, s19, s22
.LBB0_14:                               ;   in Loop: Header=BB0_5 Depth=1
	s_delay_alu instid0(SALU_CYCLE_1)
	s_and_saveexec_b32 s19, s22
	s_cbranch_execz .LBB0_4
; %bb.15:                               ;   in Loop: Header=BB0_5 Depth=1
	v_lshl_add_u64 v[22:23], v[10:11], 2, s[2:3]
	v_lshl_add_u64 v[24:25], v[12:13], 2, s[0:1]
	;; [unrolled: 1-line block ×3, first 2 shown]
	global_load_b32 v26, v[22:23], off
	s_clause 0x1
	global_load_b32 v27, v[24:25], off
	global_load_b32 v28, v[20:21], off
	;; [unrolled: 1-line block ×3, first 2 shown]
	s_wait_xcnt 0x0
	v_mov_b64_e32 v[18:19], s[4:5]
	global_load_b32 v20, v[16:17], off offset:512
	s_wait_loadcnt 0x3
	v_pk_mul_f32 v[18:19], v[18:19], v[26:27]
	s_wait_loadcnt 0x1
	s_delay_alu instid0(VALU_DEP_1) | instskip(NEXT) | instid1(VALU_DEP_1)
	v_pk_mul_f32 v[18:19], v[18:19], v[28:29]
	v_add_f32_e32 v18, v18, v19
	s_wait_loadcnt 0x0
	s_delay_alu instid0(VALU_DEP_1)
	v_add_f32_e32 v18, v20, v18
	global_store_b32 v[16:17], v18, off offset:512
	s_branch .LBB0_4
.LBB0_16:                               ;   in Loop: Header=BB0_5 Depth=1
	s_mov_b32 s22, 0
	s_branch .LBB0_13
.LBB0_17:
	s_endpgm
	.section	.rodata,"a",@progbits
	.p2align	6, 0x0
	.amdhsa_kernel _ZL19rocblas_syr2_kernelILi128ELi8ELi2EPKfS1_PfEvbiT2_T3_lllS4_lllT4_llli
		.amdhsa_group_segment_fixed_size 0
		.amdhsa_private_segment_fixed_size 0
		.amdhsa_kernarg_size 376
		.amdhsa_user_sgpr_count 2
		.amdhsa_user_sgpr_dispatch_ptr 0
		.amdhsa_user_sgpr_queue_ptr 0
		.amdhsa_user_sgpr_kernarg_segment_ptr 1
		.amdhsa_user_sgpr_dispatch_id 0
		.amdhsa_user_sgpr_kernarg_preload_length 0
		.amdhsa_user_sgpr_kernarg_preload_offset 0
		.amdhsa_user_sgpr_private_segment_size 0
		.amdhsa_wavefront_size32 1
		.amdhsa_uses_dynamic_stack 0
		.amdhsa_enable_private_segment 0
		.amdhsa_system_sgpr_workgroup_id_x 1
		.amdhsa_system_sgpr_workgroup_id_y 1
		.amdhsa_system_sgpr_workgroup_id_z 1
		.amdhsa_system_sgpr_workgroup_info 0
		.amdhsa_system_vgpr_workitem_id 1
		.amdhsa_next_free_vgpr 31
		.amdhsa_next_free_sgpr 38
		.amdhsa_named_barrier_count 0
		.amdhsa_reserve_vcc 1
		.amdhsa_float_round_mode_32 0
		.amdhsa_float_round_mode_16_64 0
		.amdhsa_float_denorm_mode_32 3
		.amdhsa_float_denorm_mode_16_64 3
		.amdhsa_fp16_overflow 0
		.amdhsa_memory_ordered 1
		.amdhsa_forward_progress 1
		.amdhsa_inst_pref_size 8
		.amdhsa_round_robin_scheduling 0
		.amdhsa_exception_fp_ieee_invalid_op 0
		.amdhsa_exception_fp_denorm_src 0
		.amdhsa_exception_fp_ieee_div_zero 0
		.amdhsa_exception_fp_ieee_overflow 0
		.amdhsa_exception_fp_ieee_underflow 0
		.amdhsa_exception_fp_ieee_inexact 0
		.amdhsa_exception_int_div_zero 0
	.end_amdhsa_kernel
	.section	.text._ZL19rocblas_syr2_kernelILi128ELi8ELi2EPKfS1_PfEvbiT2_T3_lllS4_lllT4_llli,"axG",@progbits,_ZL19rocblas_syr2_kernelILi128ELi8ELi2EPKfS1_PfEvbiT2_T3_lllS4_lllT4_llli,comdat
.Lfunc_end0:
	.size	_ZL19rocblas_syr2_kernelILi128ELi8ELi2EPKfS1_PfEvbiT2_T3_lllS4_lllT4_llli, .Lfunc_end0-_ZL19rocblas_syr2_kernelILi128ELi8ELi2EPKfS1_PfEvbiT2_T3_lllS4_lllT4_llli
                                        ; -- End function
	.set _ZL19rocblas_syr2_kernelILi128ELi8ELi2EPKfS1_PfEvbiT2_T3_lllS4_lllT4_llli.num_vgpr, 31
	.set _ZL19rocblas_syr2_kernelILi128ELi8ELi2EPKfS1_PfEvbiT2_T3_lllS4_lllT4_llli.num_agpr, 0
	.set _ZL19rocblas_syr2_kernelILi128ELi8ELi2EPKfS1_PfEvbiT2_T3_lllS4_lllT4_llli.numbered_sgpr, 38
	.set _ZL19rocblas_syr2_kernelILi128ELi8ELi2EPKfS1_PfEvbiT2_T3_lllS4_lllT4_llli.num_named_barrier, 0
	.set _ZL19rocblas_syr2_kernelILi128ELi8ELi2EPKfS1_PfEvbiT2_T3_lllS4_lllT4_llli.private_seg_size, 0
	.set _ZL19rocblas_syr2_kernelILi128ELi8ELi2EPKfS1_PfEvbiT2_T3_lllS4_lllT4_llli.uses_vcc, 1
	.set _ZL19rocblas_syr2_kernelILi128ELi8ELi2EPKfS1_PfEvbiT2_T3_lllS4_lllT4_llli.uses_flat_scratch, 0
	.set _ZL19rocblas_syr2_kernelILi128ELi8ELi2EPKfS1_PfEvbiT2_T3_lllS4_lllT4_llli.has_dyn_sized_stack, 0
	.set _ZL19rocblas_syr2_kernelILi128ELi8ELi2EPKfS1_PfEvbiT2_T3_lllS4_lllT4_llli.has_recursion, 0
	.set _ZL19rocblas_syr2_kernelILi128ELi8ELi2EPKfS1_PfEvbiT2_T3_lllS4_lllT4_llli.has_indirect_call, 0
	.section	.AMDGPU.csdata,"",@progbits
; Kernel info:
; codeLenInByte = 988
; TotalNumSgprs: 40
; NumVgprs: 31
; ScratchSize: 0
; MemoryBound: 0
; FloatMode: 240
; IeeeMode: 1
; LDSByteSize: 0 bytes/workgroup (compile time only)
; SGPRBlocks: 0
; VGPRBlocks: 1
; NumSGPRsForWavesPerEU: 40
; NumVGPRsForWavesPerEU: 31
; NamedBarCnt: 0
; Occupancy: 16
; WaveLimiterHint : 1
; COMPUTE_PGM_RSRC2:SCRATCH_EN: 0
; COMPUTE_PGM_RSRC2:USER_SGPR: 2
; COMPUTE_PGM_RSRC2:TRAP_HANDLER: 0
; COMPUTE_PGM_RSRC2:TGID_X_EN: 1
; COMPUTE_PGM_RSRC2:TGID_Y_EN: 1
; COMPUTE_PGM_RSRC2:TGID_Z_EN: 1
; COMPUTE_PGM_RSRC2:TIDIG_COMP_CNT: 1
	.section	.text._ZL19rocblas_syr2_kernelILi128ELi8ELi2EfPKfPfEvbiT2_T3_lllS4_lllT4_llli,"axG",@progbits,_ZL19rocblas_syr2_kernelILi128ELi8ELi2EfPKfPfEvbiT2_T3_lllS4_lllT4_llli,comdat
	.globl	_ZL19rocblas_syr2_kernelILi128ELi8ELi2EfPKfPfEvbiT2_T3_lllS4_lllT4_llli ; -- Begin function _ZL19rocblas_syr2_kernelILi128ELi8ELi2EfPKfPfEvbiT2_T3_lllS4_lllT4_llli
	.p2align	8
	.type	_ZL19rocblas_syr2_kernelILi128ELi8ELi2EfPKfPfEvbiT2_T3_lllS4_lllT4_llli,@function
_ZL19rocblas_syr2_kernelILi128ELi8ELi2EfPKfPfEvbiT2_T3_lllS4_lllT4_llli: ; @_ZL19rocblas_syr2_kernelILi128ELi8ELi2EfPKfPfEvbiT2_T3_lllS4_lllT4_llli
; %bb.0:
	s_clause 0x1
	s_load_b64 s[2:3], s[0:1], 0x84
	s_load_b96 s[28:30], s[0:1], 0x0
	s_wait_kmcnt 0x0
	s_lshr_b32 s4, s2, 16
	s_and_b32 s2, s2, 0xffff
	s_and_b32 s3, s3, 0xffff
	s_mul_i32 s2, s4, s2
	s_delay_alu instid0(SALU_CYCLE_1) | instskip(NEXT) | instid1(SALU_CYCLE_1)
	s_mul_i32 s2, s2, s3
	s_cmp_lg_u32 s2, 0x400
	s_cselect_b32 s2, -1, 0
	s_cmp_eq_f32 s30, 0
	s_cselect_b32 s3, -1, 0
	s_delay_alu instid0(SALU_CYCLE_1) | instskip(NEXT) | instid1(SALU_CYCLE_1)
	s_or_b32 s2, s3, s2
	s_and_b32 vcc_lo, exec_lo, s2
	s_cbranch_vccnz .LBB1_16
; %bb.1:
	s_load_b32 s31, s[0:1], 0x70
	s_bfe_u32 s2, ttmp6, 0x40014
	s_lshr_b32 s3, ttmp7, 16
	s_add_co_i32 s2, s2, 1
	s_bfe_u32 s5, ttmp6, 0x40008
	s_mul_i32 s4, s3, s2
	s_getreg_b32 s2, hwreg(HW_REG_IB_STS2, 6, 4)
	s_add_co_i32 s5, s5, s4
	s_cmp_eq_u32 s2, 0
	s_cselect_b32 s34, s3, s5
	s_wait_kmcnt 0x0
	s_cmp_ge_u32 s34, s31
	s_cbranch_scc1 .LBB1_16
; %bb.2:
	s_clause 0x1
	s_load_b512 s[4:19], s[0:1], 0x10
	s_load_b256 s[20:27], s[0:1], 0x50
	v_and_b32_e32 v1, 0x3ff, v0
	v_bfe_u32 v0, v0, 10, 10
	s_mov_b32 s35, 0
	s_wait_kmcnt 0x0
	s_lshl_b64 s[0:1], s[6:7], 2
	s_lshl_b64 s[36:37], s[14:15], 2
	s_bitcmp1_b32 s28, 0
	s_cselect_b32 s3, -1, 0
	s_bfe_u32 s7, ttmp6, 0x40010
	s_bfe_u32 s33, ttmp6, 0x4000c
	s_and_b32 s6, ttmp7, 0xffff
	s_add_co_i32 s7, s7, 1
	s_add_co_i32 s33, s33, 1
	s_bfe_u32 s15, ttmp6, 0x40004
	s_and_b32 s28, ttmp6, 15
	s_xor_b32 s14, s3, -1
	s_mul_i32 s3, s6, s7
	s_mul_i32 s7, ttmp9, s33
	s_lshl_b64 s[24:25], s[24:25], 2
	s_add_co_i32 s15, s15, s3
	s_add_co_i32 s28, s28, s7
	s_cmp_eq_u32 s2, 0
	s_cselect_b32 s2, s6, s15
	s_cselect_b32 s3, ttmp9, s28
	v_lshl_add_u32 v14, s2, 3, v0
	v_lshl_add_u32 v0, s3, 8, v1
	s_add_nc_u64 s[6:7], s[4:5], s[0:1]
	s_delay_alu instid0(VALU_DEP_1) | instskip(SKIP_3) | instid1(VALU_DEP_4)
	v_dual_ashrrev_i32 v15, 31, v14 :: v_dual_ashrrev_i32 v1, 31, v0
	v_add_nc_u32_e32 v16, 0x80, v0
	v_cmp_gt_i32_e64 s0, s29, v0
	v_cmp_le_i32_e64 s1, v14, v0
	v_mul_u64_e32 v[18:19], s[22:23], v[14:15]
	v_mul_u64_e32 v[2:3], s[16:17], v[14:15]
	v_ashrrev_i32_e32 v17, 31, v16
	v_mul_u64_e32 v[4:5], s[8:9], v[14:15]
	v_mul_u64_e32 v[6:7], s[8:9], v[0:1]
	;; [unrolled: 1-line block ×3, first 2 shown]
	v_cmp_gt_i32_e32 vcc_lo, s29, v14
	v_mul_u64_e32 v[10:11], s[8:9], v[16:17]
	v_mul_u64_e32 v[12:13], s[16:17], v[16:17]
	s_add_nc_u64 s[8:9], s[12:13], s[36:37]
	v_cmp_le_i32_e64 s2, v0, v14
	v_cmp_gt_i32_e64 s3, s29, v16
	v_cmp_le_i32_e64 s4, v14, v16
	s_add_nc_u64 s[16:17], s[20:21], s[24:25]
	s_and_b32 s12, s1, s0
	v_cmp_le_i32_e64 s0, v16, v14
	s_and_b32 s13, s2, vcc_lo
	s_and_b32 s15, s3, s4
	s_mov_b32 s1, s30
	v_lshl_add_u64 v[14:15], v[18:19], 2, s[16:17]
	s_and_b32 s16, vcc_lo, s0
	s_mov_b32 s0, s30
	s_branch .LBB1_4
.LBB1_3:                                ;   in Loop: Header=BB1_4 Depth=1
	s_wait_xcnt 0x0
	s_or_b32 exec_lo, exec_lo, s17
	s_add_co_i32 s34, s34, 0x10000
	s_delay_alu instid0(SALU_CYCLE_1)
	s_cmp_lt_u32 s34, s31
	s_cbranch_scc0 .LBB1_16
.LBB1_4:                                ; =>This Inner Loop Header: Depth=1
	s_and_b32 vcc_lo, exec_lo, s14
	s_mov_b32 s17, 0
	s_mov_b32 s2, -1
	s_cbranch_vccz .LBB1_6
; %bb.5:                                ;   in Loop: Header=BB1_4 Depth=1
	s_mov_b32 s2, 0
	s_and_b32 s17, s12, exec_lo
.LBB1_6:                                ;   in Loop: Header=BB1_4 Depth=1
	s_and_not1_b32 vcc_lo, exec_lo, s2
	s_cbranch_vccnz .LBB1_8
; %bb.7:                                ;   in Loop: Header=BB1_4 Depth=1
	s_and_not1_b32 s2, s17, exec_lo
	s_and_b32 s3, s13, exec_lo
	s_delay_alu instid0(SALU_CYCLE_1)
	s_or_b32 s17, s2, s3
.LBB1_8:                                ;   in Loop: Header=BB1_4 Depth=1
	s_mul_u64 s[2:3], s[26:27], s[34:35]
	s_mul_u64 s[4:5], s[10:11], s[34:35]
	s_mul_u64 s[20:21], s[18:19], s[34:35]
	v_lshl_add_u64 v[16:17], s[2:3], 2, v[14:15]
	s_lshl_b64 s[4:5], s[4:5], 2
	s_lshl_b64 s[20:21], s[20:21], 2
	s_add_nc_u64 s[4:5], s[6:7], s[4:5]
	s_add_nc_u64 s[2:3], s[8:9], s[20:21]
	v_lshl_add_u64 v[20:21], v[4:5], 2, s[4:5]
	v_lshl_add_u64 v[18:19], v[2:3], 2, s[2:3]
	;; [unrolled: 1-line block ×3, first 2 shown]
	s_and_saveexec_b32 s20, s17
	s_cbranch_execz .LBB1_10
; %bb.9:                                ;   in Loop: Header=BB1_4 Depth=1
	v_lshl_add_u64 v[22:23], v[6:7], 2, s[4:5]
	v_lshl_add_u64 v[24:25], v[8:9], 2, s[2:3]
	global_load_b32 v26, v[22:23], off
	s_clause 0x1
	global_load_b32 v27, v[24:25], off
	global_load_b32 v28, v[18:19], off
	;; [unrolled: 1-line block ×4, first 2 shown]
	s_wait_xcnt 0x4
	v_mov_b64_e32 v[22:23], s[0:1]
	s_wait_loadcnt 0x3
	s_delay_alu instid0(VALU_DEP_1) | instskip(SKIP_1) | instid1(VALU_DEP_1)
	v_pk_mul_f32 v[22:23], v[22:23], v[26:27]
	s_wait_loadcnt 0x1
	v_pk_mul_f32 v[22:23], v[22:23], v[28:29]
	s_delay_alu instid0(VALU_DEP_1) | instskip(SKIP_1) | instid1(VALU_DEP_1)
	v_add_f32_e32 v22, v22, v23
	s_wait_loadcnt 0x0
	v_add_f32_e32 v22, v30, v22
	global_store_b32 v[16:17], v22, off
.LBB1_10:                               ;   in Loop: Header=BB1_4 Depth=1
	s_wait_xcnt 0x0
	s_or_b32 exec_lo, exec_lo, s20
	s_delay_alu instid0(SALU_CYCLE_1)
	s_and_not1_b32 vcc_lo, exec_lo, s14
	s_cbranch_vccnz .LBB1_12
; %bb.11:                               ;   in Loop: Header=BB1_4 Depth=1
	s_and_b32 s20, s15, exec_lo
	s_cbranch_execz .LBB1_13
	s_branch .LBB1_14
.LBB1_12:                               ;   in Loop: Header=BB1_4 Depth=1
	s_mov_b32 s20, 0
.LBB1_13:                               ;   in Loop: Header=BB1_4 Depth=1
	s_delay_alu instid0(SALU_CYCLE_1) | instskip(SKIP_1) | instid1(SALU_CYCLE_1)
	s_and_not1_b32 s17, s20, exec_lo
	s_and_b32 s20, s16, exec_lo
	s_or_b32 s20, s17, s20
.LBB1_14:                               ;   in Loop: Header=BB1_4 Depth=1
	s_delay_alu instid0(SALU_CYCLE_1)
	s_and_saveexec_b32 s17, s20
	s_cbranch_execz .LBB1_3
; %bb.15:                               ;   in Loop: Header=BB1_4 Depth=1
	v_lshl_add_u64 v[22:23], v[10:11], 2, s[4:5]
	v_lshl_add_u64 v[24:25], v[12:13], 2, s[2:3]
	global_load_b32 v26, v[22:23], off
	s_clause 0x1
	global_load_b32 v27, v[24:25], off
	global_load_b32 v28, v[18:19], off
	global_load_b32 v29, v[20:21], off
	global_load_b32 v30, v[16:17], off offset:512
	s_wait_xcnt 0x2
	v_mov_b64_e32 v[18:19], s[0:1]
	s_wait_loadcnt 0x3
	s_delay_alu instid0(VALU_DEP_1) | instskip(SKIP_1) | instid1(VALU_DEP_1)
	v_pk_mul_f32 v[18:19], v[18:19], v[26:27]
	s_wait_loadcnt 0x1
	v_pk_mul_f32 v[18:19], v[18:19], v[28:29]
	s_delay_alu instid0(VALU_DEP_1) | instskip(SKIP_1) | instid1(VALU_DEP_1)
	v_add_f32_e32 v18, v18, v19
	s_wait_loadcnt 0x0
	v_add_f32_e32 v18, v30, v18
	global_store_b32 v[16:17], v18, off offset:512
	s_branch .LBB1_3
.LBB1_16:
	s_endpgm
	.section	.rodata,"a",@progbits
	.p2align	6, 0x0
	.amdhsa_kernel _ZL19rocblas_syr2_kernelILi128ELi8ELi2EfPKfPfEvbiT2_T3_lllS4_lllT4_llli
		.amdhsa_group_segment_fixed_size 0
		.amdhsa_private_segment_fixed_size 0
		.amdhsa_kernarg_size 376
		.amdhsa_user_sgpr_count 2
		.amdhsa_user_sgpr_dispatch_ptr 0
		.amdhsa_user_sgpr_queue_ptr 0
		.amdhsa_user_sgpr_kernarg_segment_ptr 1
		.amdhsa_user_sgpr_dispatch_id 0
		.amdhsa_user_sgpr_kernarg_preload_length 0
		.amdhsa_user_sgpr_kernarg_preload_offset 0
		.amdhsa_user_sgpr_private_segment_size 0
		.amdhsa_wavefront_size32 1
		.amdhsa_uses_dynamic_stack 0
		.amdhsa_enable_private_segment 0
		.amdhsa_system_sgpr_workgroup_id_x 1
		.amdhsa_system_sgpr_workgroup_id_y 1
		.amdhsa_system_sgpr_workgroup_id_z 1
		.amdhsa_system_sgpr_workgroup_info 0
		.amdhsa_system_vgpr_workitem_id 1
		.amdhsa_next_free_vgpr 31
		.amdhsa_next_free_sgpr 38
		.amdhsa_named_barrier_count 0
		.amdhsa_reserve_vcc 1
		.amdhsa_float_round_mode_32 0
		.amdhsa_float_round_mode_16_64 0
		.amdhsa_float_denorm_mode_32 3
		.amdhsa_float_denorm_mode_16_64 3
		.amdhsa_fp16_overflow 0
		.amdhsa_memory_ordered 1
		.amdhsa_forward_progress 1
		.amdhsa_inst_pref_size 8
		.amdhsa_round_robin_scheduling 0
		.amdhsa_exception_fp_ieee_invalid_op 0
		.amdhsa_exception_fp_denorm_src 0
		.amdhsa_exception_fp_ieee_div_zero 0
		.amdhsa_exception_fp_ieee_overflow 0
		.amdhsa_exception_fp_ieee_underflow 0
		.amdhsa_exception_fp_ieee_inexact 0
		.amdhsa_exception_int_div_zero 0
	.end_amdhsa_kernel
	.section	.text._ZL19rocblas_syr2_kernelILi128ELi8ELi2EfPKfPfEvbiT2_T3_lllS4_lllT4_llli,"axG",@progbits,_ZL19rocblas_syr2_kernelILi128ELi8ELi2EfPKfPfEvbiT2_T3_lllS4_lllT4_llli,comdat
.Lfunc_end1:
	.size	_ZL19rocblas_syr2_kernelILi128ELi8ELi2EfPKfPfEvbiT2_T3_lllS4_lllT4_llli, .Lfunc_end1-_ZL19rocblas_syr2_kernelILi128ELi8ELi2EfPKfPfEvbiT2_T3_lllS4_lllT4_llli
                                        ; -- End function
	.set _ZL19rocblas_syr2_kernelILi128ELi8ELi2EfPKfPfEvbiT2_T3_lllS4_lllT4_llli.num_vgpr, 31
	.set _ZL19rocblas_syr2_kernelILi128ELi8ELi2EfPKfPfEvbiT2_T3_lllS4_lllT4_llli.num_agpr, 0
	.set _ZL19rocblas_syr2_kernelILi128ELi8ELi2EfPKfPfEvbiT2_T3_lllS4_lllT4_llli.numbered_sgpr, 38
	.set _ZL19rocblas_syr2_kernelILi128ELi8ELi2EfPKfPfEvbiT2_T3_lllS4_lllT4_llli.num_named_barrier, 0
	.set _ZL19rocblas_syr2_kernelILi128ELi8ELi2EfPKfPfEvbiT2_T3_lllS4_lllT4_llli.private_seg_size, 0
	.set _ZL19rocblas_syr2_kernelILi128ELi8ELi2EfPKfPfEvbiT2_T3_lllS4_lllT4_llli.uses_vcc, 1
	.set _ZL19rocblas_syr2_kernelILi128ELi8ELi2EfPKfPfEvbiT2_T3_lllS4_lllT4_llli.uses_flat_scratch, 0
	.set _ZL19rocblas_syr2_kernelILi128ELi8ELi2EfPKfPfEvbiT2_T3_lllS4_lllT4_llli.has_dyn_sized_stack, 0
	.set _ZL19rocblas_syr2_kernelILi128ELi8ELi2EfPKfPfEvbiT2_T3_lllS4_lllT4_llli.has_recursion, 0
	.set _ZL19rocblas_syr2_kernelILi128ELi8ELi2EfPKfPfEvbiT2_T3_lllS4_lllT4_llli.has_indirect_call, 0
	.section	.AMDGPU.csdata,"",@progbits
; Kernel info:
; codeLenInByte = 972
; TotalNumSgprs: 40
; NumVgprs: 31
; ScratchSize: 0
; MemoryBound: 0
; FloatMode: 240
; IeeeMode: 1
; LDSByteSize: 0 bytes/workgroup (compile time only)
; SGPRBlocks: 0
; VGPRBlocks: 1
; NumSGPRsForWavesPerEU: 40
; NumVGPRsForWavesPerEU: 31
; NamedBarCnt: 0
; Occupancy: 16
; WaveLimiterHint : 0
; COMPUTE_PGM_RSRC2:SCRATCH_EN: 0
; COMPUTE_PGM_RSRC2:USER_SGPR: 2
; COMPUTE_PGM_RSRC2:TRAP_HANDLER: 0
; COMPUTE_PGM_RSRC2:TGID_X_EN: 1
; COMPUTE_PGM_RSRC2:TGID_Y_EN: 1
; COMPUTE_PGM_RSRC2:TGID_Z_EN: 1
; COMPUTE_PGM_RSRC2:TIDIG_COMP_CNT: 1
	.section	.text._ZL19rocblas_syr2_kernelILi128ELi8ELi1EPKdS1_PdEvbiT2_T3_lllS4_lllT4_llli,"axG",@progbits,_ZL19rocblas_syr2_kernelILi128ELi8ELi1EPKdS1_PdEvbiT2_T3_lllS4_lllT4_llli,comdat
	.globl	_ZL19rocblas_syr2_kernelILi128ELi8ELi1EPKdS1_PdEvbiT2_T3_lllS4_lllT4_llli ; -- Begin function _ZL19rocblas_syr2_kernelILi128ELi8ELi1EPKdS1_PdEvbiT2_T3_lllS4_lllT4_llli
	.p2align	8
	.type	_ZL19rocblas_syr2_kernelILi128ELi8ELi1EPKdS1_PdEvbiT2_T3_lllS4_lllT4_llli,@function
_ZL19rocblas_syr2_kernelILi128ELi8ELi1EPKdS1_PdEvbiT2_T3_lllS4_lllT4_llli: ; @_ZL19rocblas_syr2_kernelILi128ELi8ELi1EPKdS1_PdEvbiT2_T3_lllS4_lllT4_llli
; %bb.0:
	s_load_b64 s[2:3], s[0:1], 0x84
	s_wait_kmcnt 0x0
	s_lshr_b32 s4, s2, 16
	s_and_b32 s2, s2, 0xffff
	s_and_b32 s3, s3, 0xffff
	s_mul_i32 s2, s4, s2
	s_delay_alu instid0(SALU_CYCLE_1) | instskip(NEXT) | instid1(SALU_CYCLE_1)
	s_mul_i32 s2, s2, s3
	s_cmp_lg_u32 s2, 0x400
	s_cbranch_scc1 .LBB2_11
; %bb.1:
	s_load_b512 s[4:19], s[0:1], 0x8
	s_wait_kmcnt 0x0
	s_load_b64 s[4:5], s[4:5], 0x0
	s_wait_kmcnt 0x0
	v_cmp_eq_f64_e64 s2, s[4:5], 0
	s_and_b32 vcc_lo, exec_lo, s2
	s_cbranch_vccnz .LBB2_11
; %bb.2:
	s_load_b32 s3, s[0:1], 0x70
	s_bfe_u32 s2, ttmp6, 0x40014
	s_lshr_b32 s20, ttmp7, 16
	s_add_co_i32 s2, s2, 1
	s_bfe_u32 s22, ttmp6, 0x40008
	s_mul_i32 s21, s20, s2
	s_getreg_b32 s2, hwreg(HW_REG_IB_STS2, 6, 4)
	s_add_co_i32 s22, s22, s21
	s_cmp_eq_u32 s2, 0
	s_mov_b32 s29, 0
	s_cselect_b32 s28, s20, s22
	s_wait_kmcnt 0x0
	s_cmp_ge_u32 s28, s3
	s_cbranch_scc1 .LBB2_11
; %bb.3:
	s_clause 0x1
	s_load_b64 s[30:31], s[0:1], 0x0
	s_load_b256 s[20:27], s[0:1], 0x48
	s_lshl_b64 s[34:35], s[8:9], 3
	s_lshl_b64 s[36:37], s[16:17], 3
	v_bfe_u32 v1, v0, 10, 10
	v_and_b32_e32 v0, 0x3ff, v0
	s_add_nc_u64 s[6:7], s[6:7], s[34:35]
	s_wait_kmcnt 0x0
	s_bitcmp1_b32 s30, 0
	s_cselect_b32 s8, -1, 0
	s_bfe_u32 s17, ttmp6, 0x40010
	s_bfe_u32 s38, ttmp6, 0x4000c
	s_and_b32 s9, ttmp7, 0xffff
	s_add_co_i32 s17, s17, 1
	s_add_co_i32 s38, s38, 1
	s_bfe_u32 s30, ttmp6, 0x40004
	s_and_b32 s33, ttmp6, 15
	s_xor_b32 s16, s8, -1
	s_mul_i32 s8, s9, s17
	s_mul_i32 s17, ttmp9, s38
	s_lshl_b64 s[26:27], s[26:27], 3
	s_add_co_i32 s30, s30, s8
	s_add_co_i32 s33, s33, s17
	s_cmp_eq_u32 s2, 0
	s_cselect_b32 s2, s9, s30
	s_load_b64 s[8:9], s[0:1], 0x68
	v_lshl_add_u32 v8, s2, 3, v1
	s_cselect_b32 s2, ttmp9, s33
	s_wait_xcnt 0x0
	s_add_nc_u64 s[0:1], s[22:23], s[26:27]
	v_lshl_add_u32 v10, s2, 7, v0
	s_delay_alu instid0(VALU_DEP_1) | instskip(SKIP_1) | instid1(VALU_DEP_2)
	v_dual_ashrrev_i32 v9, 31, v8 :: v_dual_ashrrev_i32 v11, 31, v10
	v_cmp_gt_i32_e32 vcc_lo, s31, v10
	v_mul_u64_e32 v[12:13], s[24:25], v[8:9]
	v_mul_u64_e32 v[0:1], s[18:19], v[8:9]
	v_mul_u64_e32 v[2:3], s[10:11], v[8:9]
	v_mul_u64_e32 v[4:5], s[10:11], v[10:11]
	v_mul_u64_e32 v[6:7], s[18:19], v[10:11]
	v_cmp_le_i32_e64 s2, v10, v8
	s_add_nc_u64 s[10:11], s[14:15], s[36:37]
	v_lshl_add_u64 v[12:13], v[12:13], 3, s[0:1]
	v_cmp_le_i32_e64 s0, v8, v10
	v_cmp_gt_i32_e64 s1, s31, v8
	s_delay_alu instid0(VALU_DEP_3)
	v_lshl_add_u64 v[8:9], v[10:11], 3, v[12:13]
	s_and_b32 s0, s0, vcc_lo
	s_and_b32 s1, s2, s1
	s_branch .LBB2_5
.LBB2_4:                                ;   in Loop: Header=BB2_5 Depth=1
	s_wait_xcnt 0x0
	s_or_b32 exec_lo, exec_lo, s2
	s_add_co_i32 s28, s28, 0x10000
	s_delay_alu instid0(SALU_CYCLE_1)
	s_cmp_lt_u32 s28, s3
	s_cbranch_scc0 .LBB2_11
.LBB2_5:                                ; =>This Inner Loop Header: Depth=1
	s_mov_b32 s14, 0
	s_and_b32 vcc_lo, exec_lo, s16
	s_mov_b32 s2, -1
	s_cbranch_vccnz .LBB2_8
; %bb.6:                                ;   in Loop: Header=BB2_5 Depth=1
	s_and_not1_b32 vcc_lo, exec_lo, s2
	s_cbranch_vccz .LBB2_9
.LBB2_7:                                ;   in Loop: Header=BB2_5 Depth=1
	s_and_saveexec_b32 s2, s14
	s_cbranch_execz .LBB2_4
	s_branch .LBB2_10
.LBB2_8:                                ;   in Loop: Header=BB2_5 Depth=1
	s_and_b32 s14, s0, exec_lo
	s_cbranch_execnz .LBB2_7
.LBB2_9:                                ;   in Loop: Header=BB2_5 Depth=1
	s_and_not1_b32 s2, s14, exec_lo
	s_and_b32 s14, s1, exec_lo
	s_delay_alu instid0(SALU_CYCLE_1) | instskip(NEXT) | instid1(SALU_CYCLE_1)
	s_or_b32 s14, s2, s14
	s_and_saveexec_b32 s2, s14
	s_cbranch_execz .LBB2_4
.LBB2_10:                               ;   in Loop: Header=BB2_5 Depth=1
	s_mul_u64 s[14:15], s[20:21], s[28:29]
	s_mul_u64 s[18:19], s[12:13], s[28:29]
	s_lshl_b64 s[14:15], s[14:15], 3
	s_lshl_b64 s[18:19], s[18:19], 3
	s_add_nc_u64 s[14:15], s[10:11], s[14:15]
	s_add_nc_u64 s[18:19], s[6:7], s[18:19]
	v_lshl_add_u64 v[10:11], v[6:7], 3, s[14:15]
	v_lshl_add_u64 v[12:13], v[4:5], 3, s[18:19]
	;; [unrolled: 1-line block ×3, first 2 shown]
	global_load_b64 v[10:11], v[10:11], off
	s_clause 0x1
	global_load_b64 v[16:17], v[12:13], off
	global_load_b64 v[18:19], v[14:15], off
	s_wait_xcnt 0x1
	v_lshl_add_u64 v[12:13], v[0:1], 3, s[14:15]
	s_wait_kmcnt 0x0
	s_mul_u64 s[14:15], s[8:9], s[28:29]
	s_wait_xcnt 0x0
	v_lshl_add_u64 v[14:15], s[14:15], 3, v[8:9]
	global_load_b64 v[12:13], v[12:13], off
	global_load_b64 v[20:21], v[14:15], off
	s_wait_loadcnt 0x3
	v_mul_f64_e32 v[16:17], s[4:5], v[16:17]
	v_mul_f64_e32 v[10:11], s[4:5], v[10:11]
	s_wait_loadcnt 0x2
	s_delay_alu instid0(VALU_DEP_1) | instskip(SKIP_1) | instid1(VALU_DEP_1)
	v_mul_f64_e32 v[10:11], v[10:11], v[18:19]
	s_wait_loadcnt 0x1
	v_fmac_f64_e32 v[10:11], v[16:17], v[12:13]
	s_wait_loadcnt 0x0
	s_delay_alu instid0(VALU_DEP_1)
	v_add_f64_e32 v[10:11], v[20:21], v[10:11]
	global_store_b64 v[14:15], v[10:11], off
	s_branch .LBB2_4
.LBB2_11:
	s_endpgm
	.section	.rodata,"a",@progbits
	.p2align	6, 0x0
	.amdhsa_kernel _ZL19rocblas_syr2_kernelILi128ELi8ELi1EPKdS1_PdEvbiT2_T3_lllS4_lllT4_llli
		.amdhsa_group_segment_fixed_size 0
		.amdhsa_private_segment_fixed_size 0
		.amdhsa_kernarg_size 376
		.amdhsa_user_sgpr_count 2
		.amdhsa_user_sgpr_dispatch_ptr 0
		.amdhsa_user_sgpr_queue_ptr 0
		.amdhsa_user_sgpr_kernarg_segment_ptr 1
		.amdhsa_user_sgpr_dispatch_id 0
		.amdhsa_user_sgpr_kernarg_preload_length 0
		.amdhsa_user_sgpr_kernarg_preload_offset 0
		.amdhsa_user_sgpr_private_segment_size 0
		.amdhsa_wavefront_size32 1
		.amdhsa_uses_dynamic_stack 0
		.amdhsa_enable_private_segment 0
		.amdhsa_system_sgpr_workgroup_id_x 1
		.amdhsa_system_sgpr_workgroup_id_y 1
		.amdhsa_system_sgpr_workgroup_id_z 1
		.amdhsa_system_sgpr_workgroup_info 0
		.amdhsa_system_vgpr_workitem_id 1
		.amdhsa_next_free_vgpr 22
		.amdhsa_next_free_sgpr 39
		.amdhsa_named_barrier_count 0
		.amdhsa_reserve_vcc 1
		.amdhsa_float_round_mode_32 0
		.amdhsa_float_round_mode_16_64 0
		.amdhsa_float_denorm_mode_32 3
		.amdhsa_float_denorm_mode_16_64 3
		.amdhsa_fp16_overflow 0
		.amdhsa_memory_ordered 1
		.amdhsa_forward_progress 1
		.amdhsa_inst_pref_size 6
		.amdhsa_round_robin_scheduling 0
		.amdhsa_exception_fp_ieee_invalid_op 0
		.amdhsa_exception_fp_denorm_src 0
		.amdhsa_exception_fp_ieee_div_zero 0
		.amdhsa_exception_fp_ieee_overflow 0
		.amdhsa_exception_fp_ieee_underflow 0
		.amdhsa_exception_fp_ieee_inexact 0
		.amdhsa_exception_int_div_zero 0
	.end_amdhsa_kernel
	.section	.text._ZL19rocblas_syr2_kernelILi128ELi8ELi1EPKdS1_PdEvbiT2_T3_lllS4_lllT4_llli,"axG",@progbits,_ZL19rocblas_syr2_kernelILi128ELi8ELi1EPKdS1_PdEvbiT2_T3_lllS4_lllT4_llli,comdat
.Lfunc_end2:
	.size	_ZL19rocblas_syr2_kernelILi128ELi8ELi1EPKdS1_PdEvbiT2_T3_lllS4_lllT4_llli, .Lfunc_end2-_ZL19rocblas_syr2_kernelILi128ELi8ELi1EPKdS1_PdEvbiT2_T3_lllS4_lllT4_llli
                                        ; -- End function
	.set _ZL19rocblas_syr2_kernelILi128ELi8ELi1EPKdS1_PdEvbiT2_T3_lllS4_lllT4_llli.num_vgpr, 22
	.set _ZL19rocblas_syr2_kernelILi128ELi8ELi1EPKdS1_PdEvbiT2_T3_lllS4_lllT4_llli.num_agpr, 0
	.set _ZL19rocblas_syr2_kernelILi128ELi8ELi1EPKdS1_PdEvbiT2_T3_lllS4_lllT4_llli.numbered_sgpr, 39
	.set _ZL19rocblas_syr2_kernelILi128ELi8ELi1EPKdS1_PdEvbiT2_T3_lllS4_lllT4_llli.num_named_barrier, 0
	.set _ZL19rocblas_syr2_kernelILi128ELi8ELi1EPKdS1_PdEvbiT2_T3_lllS4_lllT4_llli.private_seg_size, 0
	.set _ZL19rocblas_syr2_kernelILi128ELi8ELi1EPKdS1_PdEvbiT2_T3_lllS4_lllT4_llli.uses_vcc, 1
	.set _ZL19rocblas_syr2_kernelILi128ELi8ELi1EPKdS1_PdEvbiT2_T3_lllS4_lllT4_llli.uses_flat_scratch, 0
	.set _ZL19rocblas_syr2_kernelILi128ELi8ELi1EPKdS1_PdEvbiT2_T3_lllS4_lllT4_llli.has_dyn_sized_stack, 0
	.set _ZL19rocblas_syr2_kernelILi128ELi8ELi1EPKdS1_PdEvbiT2_T3_lllS4_lllT4_llli.has_recursion, 0
	.set _ZL19rocblas_syr2_kernelILi128ELi8ELi1EPKdS1_PdEvbiT2_T3_lllS4_lllT4_llli.has_indirect_call, 0
	.section	.AMDGPU.csdata,"",@progbits
; Kernel info:
; codeLenInByte = 740
; TotalNumSgprs: 41
; NumVgprs: 22
; ScratchSize: 0
; MemoryBound: 0
; FloatMode: 240
; IeeeMode: 1
; LDSByteSize: 0 bytes/workgroup (compile time only)
; SGPRBlocks: 0
; VGPRBlocks: 1
; NumSGPRsForWavesPerEU: 41
; NumVGPRsForWavesPerEU: 22
; NamedBarCnt: 0
; Occupancy: 16
; WaveLimiterHint : 1
; COMPUTE_PGM_RSRC2:SCRATCH_EN: 0
; COMPUTE_PGM_RSRC2:USER_SGPR: 2
; COMPUTE_PGM_RSRC2:TRAP_HANDLER: 0
; COMPUTE_PGM_RSRC2:TGID_X_EN: 1
; COMPUTE_PGM_RSRC2:TGID_Y_EN: 1
; COMPUTE_PGM_RSRC2:TGID_Z_EN: 1
; COMPUTE_PGM_RSRC2:TIDIG_COMP_CNT: 1
	.section	.text._ZL19rocblas_syr2_kernelILi128ELi8ELi1EdPKdPdEvbiT2_T3_lllS4_lllT4_llli,"axG",@progbits,_ZL19rocblas_syr2_kernelILi128ELi8ELi1EdPKdPdEvbiT2_T3_lllS4_lllT4_llli,comdat
	.globl	_ZL19rocblas_syr2_kernelILi128ELi8ELi1EdPKdPdEvbiT2_T3_lllS4_lllT4_llli ; -- Begin function _ZL19rocblas_syr2_kernelILi128ELi8ELi1EdPKdPdEvbiT2_T3_lllS4_lllT4_llli
	.p2align	8
	.type	_ZL19rocblas_syr2_kernelILi128ELi8ELi1EdPKdPdEvbiT2_T3_lllS4_lllT4_llli,@function
_ZL19rocblas_syr2_kernelILi128ELi8ELi1EdPKdPdEvbiT2_T3_lllS4_lllT4_llli: ; @_ZL19rocblas_syr2_kernelILi128ELi8ELi1EdPKdPdEvbiT2_T3_lllS4_lllT4_llli
; %bb.0:
	s_clause 0x1
	s_load_b512 s[4:19], s[0:1], 0x8
	s_load_b64 s[2:3], s[0:1], 0x84
	s_wait_kmcnt 0x0
	v_cmp_eq_f64_e64 s20, s[4:5], 0
	s_lshr_b32 s21, s2, 16
	s_and_b32 s2, s2, 0xffff
	s_and_b32 s3, s3, 0xffff
	s_mul_i32 s2, s21, s2
	s_delay_alu instid0(SALU_CYCLE_1) | instskip(NEXT) | instid1(SALU_CYCLE_1)
	s_mul_i32 s2, s2, s3
	s_cmp_lg_u32 s2, 0x400
	s_cselect_b32 s2, -1, 0
	s_delay_alu instid0(SALU_CYCLE_1) | instskip(NEXT) | instid1(SALU_CYCLE_1)
	s_or_b32 s2, s20, s2
	s_and_b32 vcc_lo, exec_lo, s2
	s_cbranch_vccnz .LBB3_10
; %bb.1:
	s_load_b32 s3, s[0:1], 0x70
	s_bfe_u32 s2, ttmp6, 0x40014
	s_lshr_b32 s20, ttmp7, 16
	s_add_co_i32 s2, s2, 1
	s_bfe_u32 s22, ttmp6, 0x40008
	s_mul_i32 s21, s20, s2
	s_getreg_b32 s2, hwreg(HW_REG_IB_STS2, 6, 4)
	s_add_co_i32 s22, s22, s21
	s_cmp_eq_u32 s2, 0
	s_mov_b32 s29, 0
	s_cselect_b32 s28, s20, s22
	s_wait_kmcnt 0x0
	s_cmp_ge_u32 s28, s3
	s_cbranch_scc1 .LBB3_10
; %bb.2:
	s_clause 0x1
	s_load_b64 s[30:31], s[0:1], 0x0
	s_load_b256 s[20:27], s[0:1], 0x48
	s_lshl_b64 s[34:35], s[8:9], 3
	s_lshl_b64 s[36:37], s[16:17], 3
	v_bfe_u32 v1, v0, 10, 10
	v_and_b32_e32 v0, 0x3ff, v0
	s_add_nc_u64 s[6:7], s[6:7], s[34:35]
	s_wait_kmcnt 0x0
	s_bitcmp1_b32 s30, 0
	s_cselect_b32 s8, -1, 0
	s_bfe_u32 s17, ttmp6, 0x40010
	s_bfe_u32 s38, ttmp6, 0x4000c
	s_and_b32 s9, ttmp7, 0xffff
	s_add_co_i32 s17, s17, 1
	s_add_co_i32 s38, s38, 1
	s_bfe_u32 s30, ttmp6, 0x40004
	s_and_b32 s33, ttmp6, 15
	s_xor_b32 s16, s8, -1
	s_mul_i32 s8, s9, s17
	s_mul_i32 s17, ttmp9, s38
	s_lshl_b64 s[26:27], s[26:27], 3
	s_add_co_i32 s30, s30, s8
	s_add_co_i32 s33, s33, s17
	s_cmp_eq_u32 s2, 0
	s_cselect_b32 s2, s9, s30
	s_load_b64 s[8:9], s[0:1], 0x68
	v_lshl_add_u32 v8, s2, 3, v1
	s_cselect_b32 s2, ttmp9, s33
	s_wait_xcnt 0x0
	s_add_nc_u64 s[0:1], s[22:23], s[26:27]
	v_lshl_add_u32 v10, s2, 7, v0
	s_delay_alu instid0(VALU_DEP_1) | instskip(SKIP_1) | instid1(VALU_DEP_2)
	v_dual_ashrrev_i32 v9, 31, v8 :: v_dual_ashrrev_i32 v11, 31, v10
	v_cmp_gt_i32_e32 vcc_lo, s31, v10
	v_mul_u64_e32 v[12:13], s[24:25], v[8:9]
	v_mul_u64_e32 v[0:1], s[18:19], v[8:9]
	;; [unrolled: 1-line block ×5, first 2 shown]
	v_cmp_le_i32_e64 s2, v10, v8
	s_add_nc_u64 s[10:11], s[14:15], s[36:37]
	v_lshl_add_u64 v[12:13], v[12:13], 3, s[0:1]
	v_cmp_le_i32_e64 s0, v8, v10
	v_cmp_gt_i32_e64 s1, s31, v8
	s_delay_alu instid0(VALU_DEP_3)
	v_lshl_add_u64 v[8:9], v[10:11], 3, v[12:13]
	s_and_b32 s0, s0, vcc_lo
	s_and_b32 s1, s2, s1
	s_branch .LBB3_4
.LBB3_3:                                ;   in Loop: Header=BB3_4 Depth=1
	s_wait_xcnt 0x0
	s_or_b32 exec_lo, exec_lo, s2
	s_add_co_i32 s28, s28, 0x10000
	s_delay_alu instid0(SALU_CYCLE_1)
	s_cmp_lt_u32 s28, s3
	s_cbranch_scc0 .LBB3_10
.LBB3_4:                                ; =>This Inner Loop Header: Depth=1
	s_mov_b32 s14, 0
	s_and_b32 vcc_lo, exec_lo, s16
	s_mov_b32 s2, -1
	s_cbranch_vccnz .LBB3_7
; %bb.5:                                ;   in Loop: Header=BB3_4 Depth=1
	s_and_not1_b32 vcc_lo, exec_lo, s2
	s_cbranch_vccz .LBB3_8
.LBB3_6:                                ;   in Loop: Header=BB3_4 Depth=1
	s_and_saveexec_b32 s2, s14
	s_cbranch_execz .LBB3_3
	s_branch .LBB3_9
.LBB3_7:                                ;   in Loop: Header=BB3_4 Depth=1
	s_and_b32 s14, s0, exec_lo
	s_cbranch_execnz .LBB3_6
.LBB3_8:                                ;   in Loop: Header=BB3_4 Depth=1
	s_and_not1_b32 s2, s14, exec_lo
	s_and_b32 s14, s1, exec_lo
	s_delay_alu instid0(SALU_CYCLE_1) | instskip(NEXT) | instid1(SALU_CYCLE_1)
	s_or_b32 s14, s2, s14
	s_and_saveexec_b32 s2, s14
	s_cbranch_execz .LBB3_3
.LBB3_9:                                ;   in Loop: Header=BB3_4 Depth=1
	s_mul_u64 s[14:15], s[20:21], s[28:29]
	s_mul_u64 s[18:19], s[12:13], s[28:29]
	s_lshl_b64 s[14:15], s[14:15], 3
	s_lshl_b64 s[18:19], s[18:19], 3
	s_add_nc_u64 s[14:15], s[10:11], s[14:15]
	s_add_nc_u64 s[18:19], s[6:7], s[18:19]
	v_lshl_add_u64 v[10:11], v[6:7], 3, s[14:15]
	v_lshl_add_u64 v[12:13], v[4:5], 3, s[18:19]
	;; [unrolled: 1-line block ×3, first 2 shown]
	global_load_b64 v[10:11], v[10:11], off
	s_clause 0x1
	global_load_b64 v[16:17], v[12:13], off
	global_load_b64 v[18:19], v[14:15], off
	s_wait_xcnt 0x1
	v_lshl_add_u64 v[12:13], v[0:1], 3, s[14:15]
	s_wait_kmcnt 0x0
	s_mul_u64 s[14:15], s[8:9], s[28:29]
	s_wait_xcnt 0x0
	v_lshl_add_u64 v[14:15], s[14:15], 3, v[8:9]
	global_load_b64 v[12:13], v[12:13], off
	global_load_b64 v[20:21], v[14:15], off
	s_wait_loadcnt 0x3
	v_mul_f64_e32 v[16:17], s[4:5], v[16:17]
	v_mul_f64_e32 v[10:11], s[4:5], v[10:11]
	s_wait_loadcnt 0x2
	s_delay_alu instid0(VALU_DEP_1) | instskip(SKIP_1) | instid1(VALU_DEP_1)
	v_mul_f64_e32 v[10:11], v[10:11], v[18:19]
	s_wait_loadcnt 0x1
	v_fmac_f64_e32 v[10:11], v[16:17], v[12:13]
	s_wait_loadcnt 0x0
	s_delay_alu instid0(VALU_DEP_1)
	v_add_f64_e32 v[10:11], v[20:21], v[10:11]
	global_store_b64 v[14:15], v[10:11], off
	s_branch .LBB3_3
.LBB3_10:
	s_endpgm
	.section	.rodata,"a",@progbits
	.p2align	6, 0x0
	.amdhsa_kernel _ZL19rocblas_syr2_kernelILi128ELi8ELi1EdPKdPdEvbiT2_T3_lllS4_lllT4_llli
		.amdhsa_group_segment_fixed_size 0
		.amdhsa_private_segment_fixed_size 0
		.amdhsa_kernarg_size 376
		.amdhsa_user_sgpr_count 2
		.amdhsa_user_sgpr_dispatch_ptr 0
		.amdhsa_user_sgpr_queue_ptr 0
		.amdhsa_user_sgpr_kernarg_segment_ptr 1
		.amdhsa_user_sgpr_dispatch_id 0
		.amdhsa_user_sgpr_kernarg_preload_length 0
		.amdhsa_user_sgpr_kernarg_preload_offset 0
		.amdhsa_user_sgpr_private_segment_size 0
		.amdhsa_wavefront_size32 1
		.amdhsa_uses_dynamic_stack 0
		.amdhsa_enable_private_segment 0
		.amdhsa_system_sgpr_workgroup_id_x 1
		.amdhsa_system_sgpr_workgroup_id_y 1
		.amdhsa_system_sgpr_workgroup_id_z 1
		.amdhsa_system_sgpr_workgroup_info 0
		.amdhsa_system_vgpr_workitem_id 1
		.amdhsa_next_free_vgpr 22
		.amdhsa_next_free_sgpr 39
		.amdhsa_named_barrier_count 0
		.amdhsa_reserve_vcc 1
		.amdhsa_float_round_mode_32 0
		.amdhsa_float_round_mode_16_64 0
		.amdhsa_float_denorm_mode_32 3
		.amdhsa_float_denorm_mode_16_64 3
		.amdhsa_fp16_overflow 0
		.amdhsa_memory_ordered 1
		.amdhsa_forward_progress 1
		.amdhsa_inst_pref_size 6
		.amdhsa_round_robin_scheduling 0
		.amdhsa_exception_fp_ieee_invalid_op 0
		.amdhsa_exception_fp_denorm_src 0
		.amdhsa_exception_fp_ieee_div_zero 0
		.amdhsa_exception_fp_ieee_overflow 0
		.amdhsa_exception_fp_ieee_underflow 0
		.amdhsa_exception_fp_ieee_inexact 0
		.amdhsa_exception_int_div_zero 0
	.end_amdhsa_kernel
	.section	.text._ZL19rocblas_syr2_kernelILi128ELi8ELi1EdPKdPdEvbiT2_T3_lllS4_lllT4_llli,"axG",@progbits,_ZL19rocblas_syr2_kernelILi128ELi8ELi1EdPKdPdEvbiT2_T3_lllS4_lllT4_llli,comdat
.Lfunc_end3:
	.size	_ZL19rocblas_syr2_kernelILi128ELi8ELi1EdPKdPdEvbiT2_T3_lllS4_lllT4_llli, .Lfunc_end3-_ZL19rocblas_syr2_kernelILi128ELi8ELi1EdPKdPdEvbiT2_T3_lllS4_lllT4_llli
                                        ; -- End function
	.set _ZL19rocblas_syr2_kernelILi128ELi8ELi1EdPKdPdEvbiT2_T3_lllS4_lllT4_llli.num_vgpr, 22
	.set _ZL19rocblas_syr2_kernelILi128ELi8ELi1EdPKdPdEvbiT2_T3_lllS4_lllT4_llli.num_agpr, 0
	.set _ZL19rocblas_syr2_kernelILi128ELi8ELi1EdPKdPdEvbiT2_T3_lllS4_lllT4_llli.numbered_sgpr, 39
	.set _ZL19rocblas_syr2_kernelILi128ELi8ELi1EdPKdPdEvbiT2_T3_lllS4_lllT4_llli.num_named_barrier, 0
	.set _ZL19rocblas_syr2_kernelILi128ELi8ELi1EdPKdPdEvbiT2_T3_lllS4_lllT4_llli.private_seg_size, 0
	.set _ZL19rocblas_syr2_kernelILi128ELi8ELi1EdPKdPdEvbiT2_T3_lllS4_lllT4_llli.uses_vcc, 1
	.set _ZL19rocblas_syr2_kernelILi128ELi8ELi1EdPKdPdEvbiT2_T3_lllS4_lllT4_llli.uses_flat_scratch, 0
	.set _ZL19rocblas_syr2_kernelILi128ELi8ELi1EdPKdPdEvbiT2_T3_lllS4_lllT4_llli.has_dyn_sized_stack, 0
	.set _ZL19rocblas_syr2_kernelILi128ELi8ELi1EdPKdPdEvbiT2_T3_lllS4_lllT4_llli.has_recursion, 0
	.set _ZL19rocblas_syr2_kernelILi128ELi8ELi1EdPKdPdEvbiT2_T3_lllS4_lllT4_llli.has_indirect_call, 0
	.section	.AMDGPU.csdata,"",@progbits
; Kernel info:
; codeLenInByte = 736
; TotalNumSgprs: 41
; NumVgprs: 22
; ScratchSize: 0
; MemoryBound: 0
; FloatMode: 240
; IeeeMode: 1
; LDSByteSize: 0 bytes/workgroup (compile time only)
; SGPRBlocks: 0
; VGPRBlocks: 1
; NumSGPRsForWavesPerEU: 41
; NumVGPRsForWavesPerEU: 22
; NamedBarCnt: 0
; Occupancy: 16
; WaveLimiterHint : 1
; COMPUTE_PGM_RSRC2:SCRATCH_EN: 0
; COMPUTE_PGM_RSRC2:USER_SGPR: 2
; COMPUTE_PGM_RSRC2:TRAP_HANDLER: 0
; COMPUTE_PGM_RSRC2:TGID_X_EN: 1
; COMPUTE_PGM_RSRC2:TGID_Y_EN: 1
; COMPUTE_PGM_RSRC2:TGID_Z_EN: 1
; COMPUTE_PGM_RSRC2:TIDIG_COMP_CNT: 1
	.section	.text._ZL19rocblas_syr2_kernelILi128ELi8ELi1EPK19rocblas_complex_numIfES3_PS1_EvbiT2_T3_lllS6_lllT4_llli,"axG",@progbits,_ZL19rocblas_syr2_kernelILi128ELi8ELi1EPK19rocblas_complex_numIfES3_PS1_EvbiT2_T3_lllS6_lllT4_llli,comdat
	.globl	_ZL19rocblas_syr2_kernelILi128ELi8ELi1EPK19rocblas_complex_numIfES3_PS1_EvbiT2_T3_lllS6_lllT4_llli ; -- Begin function _ZL19rocblas_syr2_kernelILi128ELi8ELi1EPK19rocblas_complex_numIfES3_PS1_EvbiT2_T3_lllS6_lllT4_llli
	.p2align	8
	.type	_ZL19rocblas_syr2_kernelILi128ELi8ELi1EPK19rocblas_complex_numIfES3_PS1_EvbiT2_T3_lllS6_lllT4_llli,@function
_ZL19rocblas_syr2_kernelILi128ELi8ELi1EPK19rocblas_complex_numIfES3_PS1_EvbiT2_T3_lllS6_lllT4_llli: ; @_ZL19rocblas_syr2_kernelILi128ELi8ELi1EPK19rocblas_complex_numIfES3_PS1_EvbiT2_T3_lllS6_lllT4_llli
; %bb.0:
	s_load_b64 s[2:3], s[0:1], 0x84
	s_wait_kmcnt 0x0
	s_lshr_b32 s4, s2, 16
	s_and_b32 s2, s2, 0xffff
	s_and_b32 s3, s3, 0xffff
	s_mul_i32 s2, s4, s2
	s_delay_alu instid0(SALU_CYCLE_1) | instskip(NEXT) | instid1(SALU_CYCLE_1)
	s_mul_i32 s2, s2, s3
	s_cmp_lg_u32 s2, 0x400
	s_cbranch_scc1 .LBB4_11
; %bb.1:
	s_load_b512 s[4:19], s[0:1], 0x8
	s_wait_kmcnt 0x0
	s_load_b64 s[28:29], s[4:5], 0x0
	s_wait_kmcnt 0x0
	s_cmp_neq_f32 s28, 0
	s_cselect_b32 s2, -1, 0
	s_cmp_neq_f32 s29, 0
	s_cselect_b32 s3, -1, 0
	s_delay_alu instid0(SALU_CYCLE_1) | instskip(NEXT) | instid1(SALU_CYCLE_1)
	s_or_b32 s2, s2, s3
	s_and_not1_b32 vcc_lo, exec_lo, s2
	s_cbranch_vccnz .LBB4_11
; %bb.2:
	s_load_b32 s3, s[0:1], 0x70
	s_bfe_u32 s2, ttmp6, 0x40014
	s_lshr_b32 s4, ttmp7, 16
	s_add_co_i32 s2, s2, 1
	s_bfe_u32 s20, ttmp6, 0x40008
	s_mul_i32 s5, s4, s2
	s_getreg_b32 s2, hwreg(HW_REG_IB_STS2, 6, 4)
	s_add_co_i32 s20, s20, s5
	s_cmp_eq_u32 s2, 0
	s_cselect_b32 s4, s4, s20
	s_wait_kmcnt 0x0
	s_cmp_ge_u32 s4, s3
	s_cbranch_scc1 .LBB4_11
; %bb.3:
	s_clause 0x1
	s_load_b64 s[30:31], s[0:1], 0x0
	s_load_b256 s[20:27], s[0:1], 0x48
	s_lshl_b64 s[34:35], s[8:9], 3
	s_lshl_b64 s[36:37], s[16:17], 3
	v_bfe_u32 v1, v0, 10, 10
	v_and_b32_e32 v0, 0x3ff, v0
	s_add_nc_u64 s[6:7], s[6:7], s[34:35]
	s_wait_kmcnt 0x0
	s_bitcmp1_b32 s30, 0
	s_cselect_b32 s5, -1, 0
	s_bfe_u32 s9, ttmp6, 0x40010
	s_bfe_u32 s33, ttmp6, 0x4000c
	s_and_b32 s8, ttmp7, 0xffff
	s_add_co_i32 s9, s9, 1
	s_add_co_i32 s33, s33, 1
	s_bfe_u32 s17, ttmp6, 0x40004
	s_and_b32 s30, ttmp6, 15
	s_xor_b32 s16, s5, -1
	s_mul_i32 s5, s8, s9
	s_mul_i32 s9, ttmp9, s33
	s_lshl_b64 s[26:27], s[26:27], 3
	s_add_co_i32 s17, s17, s5
	s_add_co_i32 s30, s30, s9
	s_cmp_eq_u32 s2, 0
	s_mov_b32 s5, 0
	s_cselect_b32 s2, s8, s17
	s_load_b64 s[8:9], s[0:1], 0x68
	v_lshl_add_u32 v8, s2, 3, v1
	s_cselect_b32 s2, ttmp9, s30
	s_delay_alu instid0(SALU_CYCLE_1) | instskip(NEXT) | instid1(VALU_DEP_2)
	v_lshl_add_u32 v10, s2, 7, v0
	v_ashrrev_i32_e32 v9, 31, v8
	s_wait_xcnt 0x0
	v_cmp_gt_i32_e64 s1, s31, v8
	s_delay_alu instid0(VALU_DEP_3)
	v_ashrrev_i32_e32 v11, 31, v10
	v_cmp_gt_i32_e32 vcc_lo, s31, v10
	v_mul_u64_e32 v[12:13], s[24:25], v[8:9]
	v_mul_u64_e32 v[0:1], s[18:19], v[8:9]
	;; [unrolled: 1-line block ×5, first 2 shown]
	s_add_nc_u64 s[10:11], s[22:23], s[26:27]
	v_cmp_le_i32_e64 s0, v8, v10
	v_cmp_le_i32_e64 s2, v10, v8
	s_and_b32 s2, s2, s1
	s_mov_b32 s1, s28
	v_lshl_add_u64 v[12:13], v[12:13], 3, s[10:11]
	s_add_nc_u64 s[10:11], s[14:15], s[36:37]
	s_and_b32 s14, s0, vcc_lo
	s_mov_b32 s0, s29
	s_delay_alu instid0(VALU_DEP_1)
	v_lshl_add_u64 v[8:9], v[10:11], 3, v[12:13]
	s_branch .LBB4_5
.LBB4_4:                                ;   in Loop: Header=BB4_5 Depth=1
	s_wait_xcnt 0x0
	s_or_b32 exec_lo, exec_lo, s15
	s_add_co_i32 s4, s4, 0x10000
	s_delay_alu instid0(SALU_CYCLE_1)
	s_cmp_lt_u32 s4, s3
	s_cbranch_scc0 .LBB4_11
.LBB4_5:                                ; =>This Inner Loop Header: Depth=1
	s_and_b32 vcc_lo, exec_lo, s16
	s_mov_b32 s17, 0
	s_mov_b32 s15, -1
	s_cbranch_vccnz .LBB4_8
; %bb.6:                                ;   in Loop: Header=BB4_5 Depth=1
	s_and_not1_b32 vcc_lo, exec_lo, s15
	s_cbranch_vccz .LBB4_9
.LBB4_7:                                ;   in Loop: Header=BB4_5 Depth=1
	s_and_saveexec_b32 s15, s17
	s_cbranch_execz .LBB4_4
	s_branch .LBB4_10
.LBB4_8:                                ;   in Loop: Header=BB4_5 Depth=1
	s_and_b32 s17, s14, exec_lo
	s_cbranch_execnz .LBB4_7
.LBB4_9:                                ;   in Loop: Header=BB4_5 Depth=1
	s_and_not1_b32 s15, s17, exec_lo
	s_and_b32 s17, s2, exec_lo
	s_delay_alu instid0(SALU_CYCLE_1) | instskip(NEXT) | instid1(SALU_CYCLE_1)
	s_or_b32 s17, s15, s17
	s_and_saveexec_b32 s15, s17
	s_cbranch_execz .LBB4_4
.LBB4_10:                               ;   in Loop: Header=BB4_5 Depth=1
	s_mul_u64 s[18:19], s[12:13], s[4:5]
	s_mul_u64 s[22:23], s[20:21], s[4:5]
	s_lshl_b64 s[18:19], s[18:19], 3
	s_lshl_b64 s[22:23], s[22:23], 3
	s_add_nc_u64 s[18:19], s[6:7], s[18:19]
	s_add_nc_u64 s[22:23], s[10:11], s[22:23]
	v_lshl_add_u64 v[10:11], v[4:5], 3, s[18:19]
	v_lshl_add_u64 v[12:13], v[6:7], 3, s[22:23]
	v_mov_b64_e32 v[22:23], s[0:1]
	v_mov_b64_e32 v[24:25], s[28:29]
	global_load_b64 v[14:15], v[10:11], off
	global_load_b64 v[16:17], v[12:13], off
	s_wait_xcnt 0x1
	v_lshl_add_u64 v[10:11], v[0:1], 3, s[22:23]
	s_wait_xcnt 0x0
	v_lshl_add_u64 v[12:13], v[2:3], 3, s[18:19]
	s_wait_kmcnt 0x0
	s_mul_u64 s[18:19], s[8:9], s[4:5]
	global_load_b64 v[18:19], v[10:11], off
	global_load_b64 v[20:21], v[12:13], off
	s_wait_xcnt 0x1
	v_lshl_add_u64 v[10:11], s[18:19], 3, v[8:9]
	global_load_b64 v[12:13], v[10:11], off
	s_wait_loadcnt 0x4
	v_pk_mul_f32 v[26:27], v[22:23], v[14:15]
	s_wait_loadcnt 0x3
	v_pk_mul_f32 v[22:23], v[22:23], v[16:17]
	v_pk_mul_f32 v[14:15], v[24:25], v[14:15]
	;; [unrolled: 1-line block ×3, first 2 shown]
	v_add_f32_e32 v24, v26, v27
	s_delay_alu instid0(VALU_DEP_4) | instskip(NEXT) | instid1(VALU_DEP_4)
	v_add_f32_e32 v22, v22, v23
	v_pk_add_f32 v[14:15], v[14:15], v[14:15] op_sel:[0,1] op_sel_hi:[0,1] neg_lo:[0,1] neg_hi:[0,1]
	s_delay_alu instid0(VALU_DEP_4) | instskip(SKIP_4) | instid1(VALU_DEP_2)
	v_pk_add_f32 v[16:17], v[16:17], v[16:17] op_sel:[0,1] op_sel_hi:[0,1] neg_lo:[0,1] neg_hi:[0,1]
	s_wait_loadcnt 0x2
	v_pk_mul_f32 v[24:25], v[18:19], v[24:25] op_sel:[1,0] op_sel_hi:[0,0]
	s_wait_loadcnt 0x1
	v_pk_mul_f32 v[22:23], v[20:21], v[22:23] op_sel:[1,0] op_sel_hi:[0,0]
	v_pk_fma_f32 v[26:27], v[18:19], v[14:15], v[24:25]
	s_delay_alu instid0(VALU_DEP_2) | instskip(SKIP_2) | instid1(VALU_DEP_3)
	v_pk_fma_f32 v[28:29], v[20:21], v[16:17], v[22:23]
	v_pk_fma_f32 v[14:15], v[18:19], v[14:15], v[24:25] neg_lo:[0,0,1] neg_hi:[0,0,1]
	v_pk_fma_f32 v[16:17], v[20:21], v[16:17], v[22:23] neg_lo:[0,0,1] neg_hi:[0,0,1]
	v_dual_mov_b32 v15, v27 :: v_dual_mov_b32 v17, v29
	s_delay_alu instid0(VALU_DEP_1) | instskip(SKIP_1) | instid1(VALU_DEP_1)
	v_pk_add_f32 v[14:15], v[14:15], v[16:17]
	s_wait_loadcnt 0x0
	v_pk_add_f32 v[12:13], v[12:13], v[14:15]
	global_store_b64 v[10:11], v[12:13], off
	s_branch .LBB4_4
.LBB4_11:
	s_endpgm
	.section	.rodata,"a",@progbits
	.p2align	6, 0x0
	.amdhsa_kernel _ZL19rocblas_syr2_kernelILi128ELi8ELi1EPK19rocblas_complex_numIfES3_PS1_EvbiT2_T3_lllS6_lllT4_llli
		.amdhsa_group_segment_fixed_size 0
		.amdhsa_private_segment_fixed_size 0
		.amdhsa_kernarg_size 376
		.amdhsa_user_sgpr_count 2
		.amdhsa_user_sgpr_dispatch_ptr 0
		.amdhsa_user_sgpr_queue_ptr 0
		.amdhsa_user_sgpr_kernarg_segment_ptr 1
		.amdhsa_user_sgpr_dispatch_id 0
		.amdhsa_user_sgpr_kernarg_preload_length 0
		.amdhsa_user_sgpr_kernarg_preload_offset 0
		.amdhsa_user_sgpr_private_segment_size 0
		.amdhsa_wavefront_size32 1
		.amdhsa_uses_dynamic_stack 0
		.amdhsa_enable_private_segment 0
		.amdhsa_system_sgpr_workgroup_id_x 1
		.amdhsa_system_sgpr_workgroup_id_y 1
		.amdhsa_system_sgpr_workgroup_id_z 1
		.amdhsa_system_sgpr_workgroup_info 0
		.amdhsa_system_vgpr_workitem_id 1
		.amdhsa_next_free_vgpr 30
		.amdhsa_next_free_sgpr 38
		.amdhsa_named_barrier_count 0
		.amdhsa_reserve_vcc 1
		.amdhsa_float_round_mode_32 0
		.amdhsa_float_round_mode_16_64 0
		.amdhsa_float_denorm_mode_32 3
		.amdhsa_float_denorm_mode_16_64 3
		.amdhsa_fp16_overflow 0
		.amdhsa_memory_ordered 1
		.amdhsa_forward_progress 1
		.amdhsa_inst_pref_size 7
		.amdhsa_round_robin_scheduling 0
		.amdhsa_exception_fp_ieee_invalid_op 0
		.amdhsa_exception_fp_denorm_src 0
		.amdhsa_exception_fp_ieee_div_zero 0
		.amdhsa_exception_fp_ieee_overflow 0
		.amdhsa_exception_fp_ieee_underflow 0
		.amdhsa_exception_fp_ieee_inexact 0
		.amdhsa_exception_int_div_zero 0
	.end_amdhsa_kernel
	.section	.text._ZL19rocblas_syr2_kernelILi128ELi8ELi1EPK19rocblas_complex_numIfES3_PS1_EvbiT2_T3_lllS6_lllT4_llli,"axG",@progbits,_ZL19rocblas_syr2_kernelILi128ELi8ELi1EPK19rocblas_complex_numIfES3_PS1_EvbiT2_T3_lllS6_lllT4_llli,comdat
.Lfunc_end4:
	.size	_ZL19rocblas_syr2_kernelILi128ELi8ELi1EPK19rocblas_complex_numIfES3_PS1_EvbiT2_T3_lllS6_lllT4_llli, .Lfunc_end4-_ZL19rocblas_syr2_kernelILi128ELi8ELi1EPK19rocblas_complex_numIfES3_PS1_EvbiT2_T3_lllS6_lllT4_llli
                                        ; -- End function
	.set _ZL19rocblas_syr2_kernelILi128ELi8ELi1EPK19rocblas_complex_numIfES3_PS1_EvbiT2_T3_lllS6_lllT4_llli.num_vgpr, 30
	.set _ZL19rocblas_syr2_kernelILi128ELi8ELi1EPK19rocblas_complex_numIfES3_PS1_EvbiT2_T3_lllS6_lllT4_llli.num_agpr, 0
	.set _ZL19rocblas_syr2_kernelILi128ELi8ELi1EPK19rocblas_complex_numIfES3_PS1_EvbiT2_T3_lllS6_lllT4_llli.numbered_sgpr, 38
	.set _ZL19rocblas_syr2_kernelILi128ELi8ELi1EPK19rocblas_complex_numIfES3_PS1_EvbiT2_T3_lllS6_lllT4_llli.num_named_barrier, 0
	.set _ZL19rocblas_syr2_kernelILi128ELi8ELi1EPK19rocblas_complex_numIfES3_PS1_EvbiT2_T3_lllS6_lllT4_llli.private_seg_size, 0
	.set _ZL19rocblas_syr2_kernelILi128ELi8ELi1EPK19rocblas_complex_numIfES3_PS1_EvbiT2_T3_lllS6_lllT4_llli.uses_vcc, 1
	.set _ZL19rocblas_syr2_kernelILi128ELi8ELi1EPK19rocblas_complex_numIfES3_PS1_EvbiT2_T3_lllS6_lllT4_llli.uses_flat_scratch, 0
	.set _ZL19rocblas_syr2_kernelILi128ELi8ELi1EPK19rocblas_complex_numIfES3_PS1_EvbiT2_T3_lllS6_lllT4_llli.has_dyn_sized_stack, 0
	.set _ZL19rocblas_syr2_kernelILi128ELi8ELi1EPK19rocblas_complex_numIfES3_PS1_EvbiT2_T3_lllS6_lllT4_llli.has_recursion, 0
	.set _ZL19rocblas_syr2_kernelILi128ELi8ELi1EPK19rocblas_complex_numIfES3_PS1_EvbiT2_T3_lllS6_lllT4_llli.has_indirect_call, 0
	.section	.AMDGPU.csdata,"",@progbits
; Kernel info:
; codeLenInByte = 896
; TotalNumSgprs: 40
; NumVgprs: 30
; ScratchSize: 0
; MemoryBound: 0
; FloatMode: 240
; IeeeMode: 1
; LDSByteSize: 0 bytes/workgroup (compile time only)
; SGPRBlocks: 0
; VGPRBlocks: 1
; NumSGPRsForWavesPerEU: 40
; NumVGPRsForWavesPerEU: 30
; NamedBarCnt: 0
; Occupancy: 16
; WaveLimiterHint : 1
; COMPUTE_PGM_RSRC2:SCRATCH_EN: 0
; COMPUTE_PGM_RSRC2:USER_SGPR: 2
; COMPUTE_PGM_RSRC2:TRAP_HANDLER: 0
; COMPUTE_PGM_RSRC2:TGID_X_EN: 1
; COMPUTE_PGM_RSRC2:TGID_Y_EN: 1
; COMPUTE_PGM_RSRC2:TGID_Z_EN: 1
; COMPUTE_PGM_RSRC2:TIDIG_COMP_CNT: 1
	.section	.text._ZL19rocblas_syr2_kernelILi128ELi8ELi1E19rocblas_complex_numIfEPKS1_PS1_EvbiT2_T3_lllS6_lllT4_llli,"axG",@progbits,_ZL19rocblas_syr2_kernelILi128ELi8ELi1E19rocblas_complex_numIfEPKS1_PS1_EvbiT2_T3_lllS6_lllT4_llli,comdat
	.globl	_ZL19rocblas_syr2_kernelILi128ELi8ELi1E19rocblas_complex_numIfEPKS1_PS1_EvbiT2_T3_lllS6_lllT4_llli ; -- Begin function _ZL19rocblas_syr2_kernelILi128ELi8ELi1E19rocblas_complex_numIfEPKS1_PS1_EvbiT2_T3_lllS6_lllT4_llli
	.p2align	8
	.type	_ZL19rocblas_syr2_kernelILi128ELi8ELi1E19rocblas_complex_numIfEPKS1_PS1_EvbiT2_T3_lllS6_lllT4_llli,@function
_ZL19rocblas_syr2_kernelILi128ELi8ELi1E19rocblas_complex_numIfEPKS1_PS1_EvbiT2_T3_lllS6_lllT4_llli: ; @_ZL19rocblas_syr2_kernelILi128ELi8ELi1E19rocblas_complex_numIfEPKS1_PS1_EvbiT2_T3_lllS6_lllT4_llli
; %bb.0:
	s_load_b64 s[2:3], s[0:1], 0x84
	s_wait_kmcnt 0x0
	s_lshr_b32 s4, s2, 16
	s_and_b32 s2, s2, 0xffff
	s_and_b32 s3, s3, 0xffff
	s_mul_i32 s2, s4, s2
	s_delay_alu instid0(SALU_CYCLE_1) | instskip(NEXT) | instid1(SALU_CYCLE_1)
	s_mul_i32 s2, s2, s3
	s_cmp_lg_u32 s2, 0x400
	s_cbranch_scc1 .LBB5_11
; %bb.1:
	s_load_b64 s[28:29], s[0:1], 0x8
	s_wait_kmcnt 0x0
	s_cmp_neq_f32 s28, 0
	s_cselect_b32 s2, -1, 0
	s_cmp_neq_f32 s29, 0
	s_cselect_b32 s3, -1, 0
	s_delay_alu instid0(SALU_CYCLE_1) | instskip(NEXT) | instid1(SALU_CYCLE_1)
	s_or_b32 s2, s2, s3
	s_and_not1_b32 vcc_lo, exec_lo, s2
	s_cbranch_vccnz .LBB5_11
; %bb.2:
	s_load_b32 s3, s[0:1], 0x70
	s_bfe_u32 s2, ttmp6, 0x40014
	s_lshr_b32 s4, ttmp7, 16
	s_add_co_i32 s2, s2, 1
	s_bfe_u32 s6, ttmp6, 0x40008
	s_mul_i32 s5, s4, s2
	s_getreg_b32 s2, hwreg(HW_REG_IB_STS2, 6, 4)
	s_add_co_i32 s6, s6, s5
	s_cmp_eq_u32 s2, 0
	s_cselect_b32 s30, s4, s6
	s_wait_kmcnt 0x0
	s_cmp_ge_u32 s30, s3
	s_cbranch_scc1 .LBB5_11
; %bb.3:
	s_clause 0x2
	s_load_b512 s[4:19], s[0:1], 0x10
	s_load_b64 s[34:35], s[0:1], 0x0
	s_load_b256 s[20:27], s[0:1], 0x50
	v_bfe_u32 v1, v0, 10, 10
	v_and_b32_e32 v0, 0x3ff, v0
	s_wait_kmcnt 0x0
	s_lshl_b64 s[0:1], s[6:7], 3
	s_lshl_b64 s[6:7], s[14:15], 3
	s_bitcmp1_b32 s34, 0
	s_add_nc_u64 s[4:5], s[4:5], s[0:1]
	s_cselect_b32 s14, -1, 0
	s_bfe_u32 s31, ttmp6, 0x40010
	s_bfe_u32 s36, ttmp6, 0x4000c
	s_and_b32 s15, ttmp7, 0xffff
	s_add_co_i32 s31, s31, 1
	s_add_co_i32 s36, s36, 1
	s_bfe_u32 s33, ttmp6, 0x40004
	s_and_b32 s34, ttmp6, 15
	s_mul_i32 s31, s15, s31
	s_mul_i32 s36, ttmp9, s36
	s_lshl_b64 s[24:25], s[24:25], 3
	s_xor_b32 s14, s14, -1
	s_add_co_i32 s33, s33, s31
	s_add_co_i32 s34, s34, s36
	s_cmp_eq_u32 s2, 0
	s_add_nc_u64 s[6:7], s[12:13], s[6:7]
	s_cselect_b32 s2, s15, s33
	s_mov_b32 s31, 0
	v_lshl_add_u32 v8, s2, 3, v1
	s_cselect_b32 s2, ttmp9, s34
	s_delay_alu instid0(SALU_CYCLE_1) | instskip(NEXT) | instid1(VALU_DEP_2)
	v_lshl_add_u32 v10, s2, 7, v0
	v_ashrrev_i32_e32 v9, 31, v8
	v_cmp_gt_i32_e64 s1, s35, v8
	s_delay_alu instid0(VALU_DEP_3) | instskip(SKIP_1) | instid1(VALU_DEP_4)
	v_ashrrev_i32_e32 v11, 31, v10
	v_cmp_gt_i32_e32 vcc_lo, s35, v10
	v_mul_u64_e32 v[12:13], s[22:23], v[8:9]
	v_mul_u64_e32 v[0:1], s[16:17], v[8:9]
	;; [unrolled: 1-line block ×5, first 2 shown]
	s_add_nc_u64 s[8:9], s[20:21], s[24:25]
	v_cmp_le_i32_e64 s0, v8, v10
	v_cmp_le_i32_e64 s2, v10, v8
	s_and_b32 s2, s2, s1
	s_mov_b32 s1, s28
	v_lshl_add_u64 v[12:13], v[12:13], 3, s[8:9]
	s_and_b32 s8, s0, vcc_lo
	s_mov_b32 s0, s29
	s_delay_alu instid0(VALU_DEP_1)
	v_lshl_add_u64 v[8:9], v[10:11], 3, v[12:13]
	s_branch .LBB5_5
.LBB5_4:                                ;   in Loop: Header=BB5_5 Depth=1
	s_wait_xcnt 0x0
	s_or_b32 exec_lo, exec_lo, s9
	s_add_co_i32 s30, s30, 0x10000
	s_delay_alu instid0(SALU_CYCLE_1)
	s_cmp_lt_u32 s30, s3
	s_cbranch_scc0 .LBB5_11
.LBB5_5:                                ; =>This Inner Loop Header: Depth=1
	s_and_b32 vcc_lo, exec_lo, s14
	s_mov_b32 s12, 0
	s_mov_b32 s9, -1
	s_cbranch_vccnz .LBB5_8
; %bb.6:                                ;   in Loop: Header=BB5_5 Depth=1
	s_and_not1_b32 vcc_lo, exec_lo, s9
	s_cbranch_vccz .LBB5_9
.LBB5_7:                                ;   in Loop: Header=BB5_5 Depth=1
	s_and_saveexec_b32 s9, s12
	s_cbranch_execz .LBB5_4
	s_branch .LBB5_10
.LBB5_8:                                ;   in Loop: Header=BB5_5 Depth=1
	s_and_b32 s12, s8, exec_lo
	s_cbranch_execnz .LBB5_7
.LBB5_9:                                ;   in Loop: Header=BB5_5 Depth=1
	s_and_not1_b32 s9, s12, exec_lo
	s_and_b32 s12, s2, exec_lo
	s_delay_alu instid0(SALU_CYCLE_1) | instskip(NEXT) | instid1(SALU_CYCLE_1)
	s_or_b32 s12, s9, s12
	s_and_saveexec_b32 s9, s12
	s_cbranch_execz .LBB5_4
.LBB5_10:                               ;   in Loop: Header=BB5_5 Depth=1
	s_mul_u64 s[12:13], s[10:11], s[30:31]
	s_mul_u64 s[16:17], s[18:19], s[30:31]
	s_lshl_b64 s[12:13], s[12:13], 3
	s_lshl_b64 s[16:17], s[16:17], 3
	s_add_nc_u64 s[12:13], s[4:5], s[12:13]
	s_add_nc_u64 s[16:17], s[6:7], s[16:17]
	v_lshl_add_u64 v[10:11], v[4:5], 3, s[12:13]
	v_lshl_add_u64 v[12:13], v[6:7], 3, s[16:17]
	v_mov_b64_e32 v[22:23], s[0:1]
	v_mov_b64_e32 v[24:25], s[28:29]
	global_load_b64 v[14:15], v[10:11], off
	global_load_b64 v[16:17], v[12:13], off
	s_wait_xcnt 0x1
	v_lshl_add_u64 v[10:11], v[0:1], 3, s[16:17]
	s_wait_xcnt 0x0
	v_lshl_add_u64 v[12:13], v[2:3], 3, s[12:13]
	s_mul_u64 s[12:13], s[26:27], s[30:31]
	global_load_b64 v[18:19], v[10:11], off
	global_load_b64 v[20:21], v[12:13], off
	s_wait_xcnt 0x1
	v_lshl_add_u64 v[10:11], s[12:13], 3, v[8:9]
	global_load_b64 v[12:13], v[10:11], off
	s_wait_loadcnt 0x4
	v_pk_mul_f32 v[26:27], v[22:23], v[14:15]
	s_wait_loadcnt 0x3
	v_pk_mul_f32 v[22:23], v[22:23], v[16:17]
	v_pk_mul_f32 v[14:15], v[24:25], v[14:15]
	;; [unrolled: 1-line block ×3, first 2 shown]
	v_add_f32_e32 v24, v26, v27
	s_delay_alu instid0(VALU_DEP_4) | instskip(NEXT) | instid1(VALU_DEP_4)
	v_add_f32_e32 v22, v22, v23
	v_pk_add_f32 v[14:15], v[14:15], v[14:15] op_sel:[0,1] op_sel_hi:[0,1] neg_lo:[0,1] neg_hi:[0,1]
	s_delay_alu instid0(VALU_DEP_4) | instskip(SKIP_4) | instid1(VALU_DEP_2)
	v_pk_add_f32 v[16:17], v[16:17], v[16:17] op_sel:[0,1] op_sel_hi:[0,1] neg_lo:[0,1] neg_hi:[0,1]
	s_wait_loadcnt 0x2
	v_pk_mul_f32 v[24:25], v[18:19], v[24:25] op_sel:[1,0] op_sel_hi:[0,0]
	s_wait_loadcnt 0x1
	v_pk_mul_f32 v[22:23], v[20:21], v[22:23] op_sel:[1,0] op_sel_hi:[0,0]
	v_pk_fma_f32 v[26:27], v[18:19], v[14:15], v[24:25]
	s_delay_alu instid0(VALU_DEP_2) | instskip(SKIP_2) | instid1(VALU_DEP_3)
	v_pk_fma_f32 v[28:29], v[20:21], v[16:17], v[22:23]
	v_pk_fma_f32 v[14:15], v[18:19], v[14:15], v[24:25] neg_lo:[0,0,1] neg_hi:[0,0,1]
	v_pk_fma_f32 v[16:17], v[20:21], v[16:17], v[22:23] neg_lo:[0,0,1] neg_hi:[0,0,1]
	v_dual_mov_b32 v15, v27 :: v_dual_mov_b32 v17, v29
	s_delay_alu instid0(VALU_DEP_1) | instskip(SKIP_1) | instid1(VALU_DEP_1)
	v_pk_add_f32 v[14:15], v[14:15], v[16:17]
	s_wait_loadcnt 0x0
	v_pk_add_f32 v[12:13], v[12:13], v[14:15]
	global_store_b64 v[10:11], v[12:13], off
	s_branch .LBB5_4
.LBB5_11:
	s_endpgm
	.section	.rodata,"a",@progbits
	.p2align	6, 0x0
	.amdhsa_kernel _ZL19rocblas_syr2_kernelILi128ELi8ELi1E19rocblas_complex_numIfEPKS1_PS1_EvbiT2_T3_lllS6_lllT4_llli
		.amdhsa_group_segment_fixed_size 0
		.amdhsa_private_segment_fixed_size 0
		.amdhsa_kernarg_size 376
		.amdhsa_user_sgpr_count 2
		.amdhsa_user_sgpr_dispatch_ptr 0
		.amdhsa_user_sgpr_queue_ptr 0
		.amdhsa_user_sgpr_kernarg_segment_ptr 1
		.amdhsa_user_sgpr_dispatch_id 0
		.amdhsa_user_sgpr_kernarg_preload_length 0
		.amdhsa_user_sgpr_kernarg_preload_offset 0
		.amdhsa_user_sgpr_private_segment_size 0
		.amdhsa_wavefront_size32 1
		.amdhsa_uses_dynamic_stack 0
		.amdhsa_enable_private_segment 0
		.amdhsa_system_sgpr_workgroup_id_x 1
		.amdhsa_system_sgpr_workgroup_id_y 1
		.amdhsa_system_sgpr_workgroup_id_z 1
		.amdhsa_system_sgpr_workgroup_info 0
		.amdhsa_system_vgpr_workitem_id 1
		.amdhsa_next_free_vgpr 30
		.amdhsa_next_free_sgpr 37
		.amdhsa_named_barrier_count 0
		.amdhsa_reserve_vcc 1
		.amdhsa_float_round_mode_32 0
		.amdhsa_float_round_mode_16_64 0
		.amdhsa_float_denorm_mode_32 3
		.amdhsa_float_denorm_mode_16_64 3
		.amdhsa_fp16_overflow 0
		.amdhsa_memory_ordered 1
		.amdhsa_forward_progress 1
		.amdhsa_inst_pref_size 7
		.amdhsa_round_robin_scheduling 0
		.amdhsa_exception_fp_ieee_invalid_op 0
		.amdhsa_exception_fp_denorm_src 0
		.amdhsa_exception_fp_ieee_div_zero 0
		.amdhsa_exception_fp_ieee_overflow 0
		.amdhsa_exception_fp_ieee_underflow 0
		.amdhsa_exception_fp_ieee_inexact 0
		.amdhsa_exception_int_div_zero 0
	.end_amdhsa_kernel
	.section	.text._ZL19rocblas_syr2_kernelILi128ELi8ELi1E19rocblas_complex_numIfEPKS1_PS1_EvbiT2_T3_lllS6_lllT4_llli,"axG",@progbits,_ZL19rocblas_syr2_kernelILi128ELi8ELi1E19rocblas_complex_numIfEPKS1_PS1_EvbiT2_T3_lllS6_lllT4_llli,comdat
.Lfunc_end5:
	.size	_ZL19rocblas_syr2_kernelILi128ELi8ELi1E19rocblas_complex_numIfEPKS1_PS1_EvbiT2_T3_lllS6_lllT4_llli, .Lfunc_end5-_ZL19rocblas_syr2_kernelILi128ELi8ELi1E19rocblas_complex_numIfEPKS1_PS1_EvbiT2_T3_lllS6_lllT4_llli
                                        ; -- End function
	.set _ZL19rocblas_syr2_kernelILi128ELi8ELi1E19rocblas_complex_numIfEPKS1_PS1_EvbiT2_T3_lllS6_lllT4_llli.num_vgpr, 30
	.set _ZL19rocblas_syr2_kernelILi128ELi8ELi1E19rocblas_complex_numIfEPKS1_PS1_EvbiT2_T3_lllS6_lllT4_llli.num_agpr, 0
	.set _ZL19rocblas_syr2_kernelILi128ELi8ELi1E19rocblas_complex_numIfEPKS1_PS1_EvbiT2_T3_lllS6_lllT4_llli.numbered_sgpr, 37
	.set _ZL19rocblas_syr2_kernelILi128ELi8ELi1E19rocblas_complex_numIfEPKS1_PS1_EvbiT2_T3_lllS6_lllT4_llli.num_named_barrier, 0
	.set _ZL19rocblas_syr2_kernelILi128ELi8ELi1E19rocblas_complex_numIfEPKS1_PS1_EvbiT2_T3_lllS6_lllT4_llli.private_seg_size, 0
	.set _ZL19rocblas_syr2_kernelILi128ELi8ELi1E19rocblas_complex_numIfEPKS1_PS1_EvbiT2_T3_lllS6_lllT4_llli.uses_vcc, 1
	.set _ZL19rocblas_syr2_kernelILi128ELi8ELi1E19rocblas_complex_numIfEPKS1_PS1_EvbiT2_T3_lllS6_lllT4_llli.uses_flat_scratch, 0
	.set _ZL19rocblas_syr2_kernelILi128ELi8ELi1E19rocblas_complex_numIfEPKS1_PS1_EvbiT2_T3_lllS6_lllT4_llli.has_dyn_sized_stack, 0
	.set _ZL19rocblas_syr2_kernelILi128ELi8ELi1E19rocblas_complex_numIfEPKS1_PS1_EvbiT2_T3_lllS6_lllT4_llli.has_recursion, 0
	.set _ZL19rocblas_syr2_kernelILi128ELi8ELi1E19rocblas_complex_numIfEPKS1_PS1_EvbiT2_T3_lllS6_lllT4_llli.has_indirect_call, 0
	.section	.AMDGPU.csdata,"",@progbits
; Kernel info:
; codeLenInByte = 876
; TotalNumSgprs: 39
; NumVgprs: 30
; ScratchSize: 0
; MemoryBound: 0
; FloatMode: 240
; IeeeMode: 1
; LDSByteSize: 0 bytes/workgroup (compile time only)
; SGPRBlocks: 0
; VGPRBlocks: 1
; NumSGPRsForWavesPerEU: 39
; NumVGPRsForWavesPerEU: 30
; NamedBarCnt: 0
; Occupancy: 16
; WaveLimiterHint : 1
; COMPUTE_PGM_RSRC2:SCRATCH_EN: 0
; COMPUTE_PGM_RSRC2:USER_SGPR: 2
; COMPUTE_PGM_RSRC2:TRAP_HANDLER: 0
; COMPUTE_PGM_RSRC2:TGID_X_EN: 1
; COMPUTE_PGM_RSRC2:TGID_Y_EN: 1
; COMPUTE_PGM_RSRC2:TGID_Z_EN: 1
; COMPUTE_PGM_RSRC2:TIDIG_COMP_CNT: 1
	.section	.text._ZL19rocblas_syr2_kernelILi128ELi8ELi1EPK19rocblas_complex_numIdES3_PS1_EvbiT2_T3_lllS6_lllT4_llli,"axG",@progbits,_ZL19rocblas_syr2_kernelILi128ELi8ELi1EPK19rocblas_complex_numIdES3_PS1_EvbiT2_T3_lllS6_lllT4_llli,comdat
	.globl	_ZL19rocblas_syr2_kernelILi128ELi8ELi1EPK19rocblas_complex_numIdES3_PS1_EvbiT2_T3_lllS6_lllT4_llli ; -- Begin function _ZL19rocblas_syr2_kernelILi128ELi8ELi1EPK19rocblas_complex_numIdES3_PS1_EvbiT2_T3_lllS6_lllT4_llli
	.p2align	8
	.type	_ZL19rocblas_syr2_kernelILi128ELi8ELi1EPK19rocblas_complex_numIdES3_PS1_EvbiT2_T3_lllS6_lllT4_llli,@function
_ZL19rocblas_syr2_kernelILi128ELi8ELi1EPK19rocblas_complex_numIdES3_PS1_EvbiT2_T3_lllS6_lllT4_llli: ; @_ZL19rocblas_syr2_kernelILi128ELi8ELi1EPK19rocblas_complex_numIdES3_PS1_EvbiT2_T3_lllS6_lllT4_llli
; %bb.0:
	s_load_b64 s[2:3], s[0:1], 0x84
	s_wait_kmcnt 0x0
	s_lshr_b32 s4, s2, 16
	s_and_b32 s2, s2, 0xffff
	s_and_b32 s3, s3, 0xffff
	s_mul_i32 s2, s4, s2
	s_delay_alu instid0(SALU_CYCLE_1) | instskip(NEXT) | instid1(SALU_CYCLE_1)
	s_mul_i32 s2, s2, s3
	s_cmp_lg_u32 s2, 0x400
	s_cbranch_scc1 .LBB6_11
; %bb.1:
	s_load_b512 s[4:19], s[0:1], 0x8
	s_wait_kmcnt 0x0
	s_load_b128 s[28:31], s[4:5], 0x0
	s_wait_kmcnt 0x0
	v_cmp_neq_f64_e64 s2, s[28:29], 0
	v_cmp_neq_f64_e64 s3, s[30:31], 0
	s_or_b32 s2, s2, s3
	s_delay_alu instid0(SALU_CYCLE_1)
	s_and_not1_b32 vcc_lo, exec_lo, s2
	s_cbranch_vccnz .LBB6_11
; %bb.2:
	s_load_b32 s3, s[0:1], 0x70
	s_bfe_u32 s2, ttmp6, 0x40014
	s_lshr_b32 s4, ttmp7, 16
	s_add_co_i32 s2, s2, 1
	s_bfe_u32 s20, ttmp6, 0x40008
	s_mul_i32 s5, s4, s2
	s_getreg_b32 s2, hwreg(HW_REG_IB_STS2, 6, 4)
	s_add_co_i32 s20, s20, s5
	s_cmp_eq_u32 s2, 0
	s_mov_b32 s5, 0
	s_cselect_b32 s4, s4, s20
	s_wait_kmcnt 0x0
	s_cmp_ge_u32 s4, s3
	s_cbranch_scc1 .LBB6_11
; %bb.3:
	s_clause 0x1
	s_load_b64 s[34:35], s[0:1], 0x0
	s_load_b256 s[20:27], s[0:1], 0x48
	s_lshl_b64 s[36:37], s[8:9], 4
	s_lshl_b64 s[38:39], s[16:17], 4
	v_bfe_u32 v1, v0, 10, 10
	v_and_b32_e32 v0, 0x3ff, v0
	s_add_nc_u64 s[6:7], s[6:7], s[36:37]
	s_wait_kmcnt 0x0
	s_bitcmp1_b32 s34, 0
	s_cselect_b32 s8, -1, 0
	s_bfe_u32 s17, ttmp6, 0x40010
	s_bfe_u32 s40, ttmp6, 0x4000c
	s_and_b32 s9, ttmp7, 0xffff
	s_add_co_i32 s17, s17, 1
	s_add_co_i32 s40, s40, 1
	s_bfe_u32 s33, ttmp6, 0x40004
	s_and_b32 s34, ttmp6, 15
	s_xor_b32 s16, s8, -1
	s_mul_i32 s8, s9, s17
	s_mul_i32 s17, ttmp9, s40
	s_lshl_b64 s[26:27], s[26:27], 4
	s_add_co_i32 s33, s33, s8
	s_add_co_i32 s34, s34, s17
	s_cmp_eq_u32 s2, 0
	s_cselect_b32 s2, s9, s33
	s_load_b64 s[8:9], s[0:1], 0x68
	v_lshl_add_u32 v8, s2, 3, v1
	s_cselect_b32 s2, ttmp9, s34
	s_wait_xcnt 0x0
	s_add_nc_u64 s[0:1], s[22:23], s[26:27]
	v_lshl_add_u32 v10, s2, 7, v0
	s_delay_alu instid0(VALU_DEP_1) | instskip(SKIP_1) | instid1(VALU_DEP_2)
	v_dual_ashrrev_i32 v9, 31, v8 :: v_dual_ashrrev_i32 v11, 31, v10
	v_cmp_gt_i32_e32 vcc_lo, s35, v10
	v_mul_u64_e32 v[12:13], s[24:25], v[8:9]
	v_mul_u64_e32 v[0:1], s[18:19], v[8:9]
	;; [unrolled: 1-line block ×5, first 2 shown]
	v_cmp_le_i32_e64 s2, v10, v8
	s_add_nc_u64 s[10:11], s[14:15], s[38:39]
	v_lshl_add_u64 v[12:13], v[12:13], 4, s[0:1]
	v_cmp_le_i32_e64 s0, v8, v10
	v_cmp_gt_i32_e64 s1, s35, v8
	s_delay_alu instid0(VALU_DEP_3)
	v_lshl_add_u64 v[8:9], v[10:11], 4, v[12:13]
	s_and_b32 s0, s0, vcc_lo
	s_and_b32 s1, s2, s1
	s_branch .LBB6_5
.LBB6_4:                                ;   in Loop: Header=BB6_5 Depth=1
	s_wait_xcnt 0x0
	s_or_b32 exec_lo, exec_lo, s2
	s_add_co_i32 s4, s4, 0x10000
	s_delay_alu instid0(SALU_CYCLE_1)
	s_cmp_lt_u32 s4, s3
	s_cbranch_scc0 .LBB6_11
.LBB6_5:                                ; =>This Inner Loop Header: Depth=1
	s_mov_b32 s14, 0
	s_and_b32 vcc_lo, exec_lo, s16
	s_mov_b32 s2, -1
	s_cbranch_vccnz .LBB6_8
; %bb.6:                                ;   in Loop: Header=BB6_5 Depth=1
	s_and_not1_b32 vcc_lo, exec_lo, s2
	s_cbranch_vccz .LBB6_9
.LBB6_7:                                ;   in Loop: Header=BB6_5 Depth=1
	s_and_saveexec_b32 s2, s14
	s_cbranch_execz .LBB6_4
	s_branch .LBB6_10
.LBB6_8:                                ;   in Loop: Header=BB6_5 Depth=1
	s_and_b32 s14, s0, exec_lo
	s_cbranch_execnz .LBB6_7
.LBB6_9:                                ;   in Loop: Header=BB6_5 Depth=1
	s_and_not1_b32 s2, s14, exec_lo
	s_and_b32 s14, s1, exec_lo
	s_delay_alu instid0(SALU_CYCLE_1) | instskip(NEXT) | instid1(SALU_CYCLE_1)
	s_or_b32 s14, s2, s14
	s_and_saveexec_b32 s2, s14
	s_cbranch_execz .LBB6_4
.LBB6_10:                               ;   in Loop: Header=BB6_5 Depth=1
	s_mul_u64 s[14:15], s[12:13], s[4:5]
	s_mul_u64 s[18:19], s[20:21], s[4:5]
	s_lshl_b64 s[14:15], s[14:15], 4
	s_lshl_b64 s[18:19], s[18:19], 4
	s_add_nc_u64 s[14:15], s[6:7], s[14:15]
	s_add_nc_u64 s[18:19], s[10:11], s[18:19]
	v_lshl_add_u64 v[18:19], v[4:5], 4, s[14:15]
	v_lshl_add_u64 v[20:21], v[6:7], 4, s[18:19]
	;; [unrolled: 1-line block ×4, first 2 shown]
	s_wait_kmcnt 0x0
	s_mul_u64 s[14:15], s[8:9], s[4:5]
	global_load_b128 v[10:13], v[18:19], off
	s_clause 0x1
	global_load_b128 v[14:17], v[20:21], off
	global_load_b128 v[18:21], v[26:27], off
	;; [unrolled: 1-line block ×3, first 2 shown]
	v_lshl_add_u64 v[30:31], s[14:15], 4, v[8:9]
	global_load_b128 v[26:29], v[30:31], off
	s_wait_loadcnt 0x4
	v_mul_f64_e32 v[32:33], s[28:29], v[12:13]
	s_wait_loadcnt 0x3
	v_mul_f64_e32 v[34:35], s[28:29], v[16:17]
	v_mul_f64_e32 v[12:13], s[30:31], v[12:13]
	v_mul_f64_e32 v[16:17], s[30:31], v[16:17]
	s_delay_alu instid0(VALU_DEP_4) | instskip(NEXT) | instid1(VALU_DEP_4)
	v_fmac_f64_e32 v[32:33], s[30:31], v[10:11]
	v_fmac_f64_e32 v[34:35], s[30:31], v[14:15]
	s_delay_alu instid0(VALU_DEP_4) | instskip(NEXT) | instid1(VALU_DEP_4)
	v_fma_f64 v[10:11], s[28:29], v[10:11], -v[12:13]
	v_fma_f64 v[12:13], s[28:29], v[14:15], -v[16:17]
	s_wait_loadcnt 0x2
	s_delay_alu instid0(VALU_DEP_4) | instskip(SKIP_4) | instid1(VALU_DEP_4)
	v_mul_f64_e32 v[14:15], v[20:21], v[32:33]
	v_mul_f64_e32 v[16:17], v[18:19], v[32:33]
	s_wait_loadcnt 0x1
	v_mul_f64_e32 v[32:33], v[24:25], v[34:35]
	v_mul_f64_e32 v[34:35], v[22:23], v[34:35]
	v_fma_f64 v[14:15], v[18:19], v[10:11], -v[14:15]
	s_delay_alu instid0(VALU_DEP_4) | instskip(NEXT) | instid1(VALU_DEP_4)
	v_fmac_f64_e32 v[16:17], v[20:21], v[10:11]
	v_fma_f64 v[10:11], v[22:23], v[12:13], -v[32:33]
	s_delay_alu instid0(VALU_DEP_4) | instskip(NEXT) | instid1(VALU_DEP_2)
	v_fmac_f64_e32 v[34:35], v[24:25], v[12:13]
	v_add_f64_e32 v[10:11], v[14:15], v[10:11]
	s_delay_alu instid0(VALU_DEP_2) | instskip(SKIP_1) | instid1(VALU_DEP_2)
	v_add_f64_e32 v[12:13], v[16:17], v[34:35]
	s_wait_loadcnt 0x0
	v_add_f64_e32 v[10:11], v[26:27], v[10:11]
	s_delay_alu instid0(VALU_DEP_2)
	v_add_f64_e32 v[12:13], v[28:29], v[12:13]
	global_store_b128 v[30:31], v[10:13], off
	s_branch .LBB6_4
.LBB6_11:
	s_endpgm
	.section	.rodata,"a",@progbits
	.p2align	6, 0x0
	.amdhsa_kernel _ZL19rocblas_syr2_kernelILi128ELi8ELi1EPK19rocblas_complex_numIdES3_PS1_EvbiT2_T3_lllS6_lllT4_llli
		.amdhsa_group_segment_fixed_size 0
		.amdhsa_private_segment_fixed_size 0
		.amdhsa_kernarg_size 376
		.amdhsa_user_sgpr_count 2
		.amdhsa_user_sgpr_dispatch_ptr 0
		.amdhsa_user_sgpr_queue_ptr 0
		.amdhsa_user_sgpr_kernarg_segment_ptr 1
		.amdhsa_user_sgpr_dispatch_id 0
		.amdhsa_user_sgpr_kernarg_preload_length 0
		.amdhsa_user_sgpr_kernarg_preload_offset 0
		.amdhsa_user_sgpr_private_segment_size 0
		.amdhsa_wavefront_size32 1
		.amdhsa_uses_dynamic_stack 0
		.amdhsa_enable_private_segment 0
		.amdhsa_system_sgpr_workgroup_id_x 1
		.amdhsa_system_sgpr_workgroup_id_y 1
		.amdhsa_system_sgpr_workgroup_id_z 1
		.amdhsa_system_sgpr_workgroup_info 0
		.amdhsa_system_vgpr_workitem_id 1
		.amdhsa_next_free_vgpr 36
		.amdhsa_next_free_sgpr 41
		.amdhsa_named_barrier_count 0
		.amdhsa_reserve_vcc 1
		.amdhsa_float_round_mode_32 0
		.amdhsa_float_round_mode_16_64 0
		.amdhsa_float_denorm_mode_32 3
		.amdhsa_float_denorm_mode_16_64 3
		.amdhsa_fp16_overflow 0
		.amdhsa_memory_ordered 1
		.amdhsa_forward_progress 1
		.amdhsa_inst_pref_size 7
		.amdhsa_round_robin_scheduling 0
		.amdhsa_exception_fp_ieee_invalid_op 0
		.amdhsa_exception_fp_denorm_src 0
		.amdhsa_exception_fp_ieee_div_zero 0
		.amdhsa_exception_fp_ieee_overflow 0
		.amdhsa_exception_fp_ieee_underflow 0
		.amdhsa_exception_fp_ieee_inexact 0
		.amdhsa_exception_int_div_zero 0
	.end_amdhsa_kernel
	.section	.text._ZL19rocblas_syr2_kernelILi128ELi8ELi1EPK19rocblas_complex_numIdES3_PS1_EvbiT2_T3_lllS6_lllT4_llli,"axG",@progbits,_ZL19rocblas_syr2_kernelILi128ELi8ELi1EPK19rocblas_complex_numIdES3_PS1_EvbiT2_T3_lllS6_lllT4_llli,comdat
.Lfunc_end6:
	.size	_ZL19rocblas_syr2_kernelILi128ELi8ELi1EPK19rocblas_complex_numIdES3_PS1_EvbiT2_T3_lllS6_lllT4_llli, .Lfunc_end6-_ZL19rocblas_syr2_kernelILi128ELi8ELi1EPK19rocblas_complex_numIdES3_PS1_EvbiT2_T3_lllS6_lllT4_llli
                                        ; -- End function
	.set _ZL19rocblas_syr2_kernelILi128ELi8ELi1EPK19rocblas_complex_numIdES3_PS1_EvbiT2_T3_lllS6_lllT4_llli.num_vgpr, 36
	.set _ZL19rocblas_syr2_kernelILi128ELi8ELi1EPK19rocblas_complex_numIdES3_PS1_EvbiT2_T3_lllS6_lllT4_llli.num_agpr, 0
	.set _ZL19rocblas_syr2_kernelILi128ELi8ELi1EPK19rocblas_complex_numIdES3_PS1_EvbiT2_T3_lllS6_lllT4_llli.numbered_sgpr, 41
	.set _ZL19rocblas_syr2_kernelILi128ELi8ELi1EPK19rocblas_complex_numIdES3_PS1_EvbiT2_T3_lllS6_lllT4_llli.num_named_barrier, 0
	.set _ZL19rocblas_syr2_kernelILi128ELi8ELi1EPK19rocblas_complex_numIdES3_PS1_EvbiT2_T3_lllS6_lllT4_llli.private_seg_size, 0
	.set _ZL19rocblas_syr2_kernelILi128ELi8ELi1EPK19rocblas_complex_numIdES3_PS1_EvbiT2_T3_lllS6_lllT4_llli.uses_vcc, 1
	.set _ZL19rocblas_syr2_kernelILi128ELi8ELi1EPK19rocblas_complex_numIdES3_PS1_EvbiT2_T3_lllS6_lllT4_llli.uses_flat_scratch, 0
	.set _ZL19rocblas_syr2_kernelILi128ELi8ELi1EPK19rocblas_complex_numIdES3_PS1_EvbiT2_T3_lllS6_lllT4_llli.has_dyn_sized_stack, 0
	.set _ZL19rocblas_syr2_kernelILi128ELi8ELi1EPK19rocblas_complex_numIdES3_PS1_EvbiT2_T3_lllS6_lllT4_llli.has_recursion, 0
	.set _ZL19rocblas_syr2_kernelILi128ELi8ELi1EPK19rocblas_complex_numIdES3_PS1_EvbiT2_T3_lllS6_lllT4_llli.has_indirect_call, 0
	.section	.AMDGPU.csdata,"",@progbits
; Kernel info:
; codeLenInByte = 848
; TotalNumSgprs: 43
; NumVgprs: 36
; ScratchSize: 0
; MemoryBound: 0
; FloatMode: 240
; IeeeMode: 1
; LDSByteSize: 0 bytes/workgroup (compile time only)
; SGPRBlocks: 0
; VGPRBlocks: 2
; NumSGPRsForWavesPerEU: 43
; NumVGPRsForWavesPerEU: 36
; NamedBarCnt: 0
; Occupancy: 16
; WaveLimiterHint : 1
; COMPUTE_PGM_RSRC2:SCRATCH_EN: 0
; COMPUTE_PGM_RSRC2:USER_SGPR: 2
; COMPUTE_PGM_RSRC2:TRAP_HANDLER: 0
; COMPUTE_PGM_RSRC2:TGID_X_EN: 1
; COMPUTE_PGM_RSRC2:TGID_Y_EN: 1
; COMPUTE_PGM_RSRC2:TGID_Z_EN: 1
; COMPUTE_PGM_RSRC2:TIDIG_COMP_CNT: 1
	.section	.text._ZL19rocblas_syr2_kernelILi128ELi8ELi1E19rocblas_complex_numIdEPKS1_PS1_EvbiT2_T3_lllS6_lllT4_llli,"axG",@progbits,_ZL19rocblas_syr2_kernelILi128ELi8ELi1E19rocblas_complex_numIdEPKS1_PS1_EvbiT2_T3_lllS6_lllT4_llli,comdat
	.globl	_ZL19rocblas_syr2_kernelILi128ELi8ELi1E19rocblas_complex_numIdEPKS1_PS1_EvbiT2_T3_lllS6_lllT4_llli ; -- Begin function _ZL19rocblas_syr2_kernelILi128ELi8ELi1E19rocblas_complex_numIdEPKS1_PS1_EvbiT2_T3_lllS6_lllT4_llli
	.p2align	8
	.type	_ZL19rocblas_syr2_kernelILi128ELi8ELi1E19rocblas_complex_numIdEPKS1_PS1_EvbiT2_T3_lllS6_lllT4_llli,@function
_ZL19rocblas_syr2_kernelILi128ELi8ELi1E19rocblas_complex_numIdEPKS1_PS1_EvbiT2_T3_lllS6_lllT4_llli: ; @_ZL19rocblas_syr2_kernelILi128ELi8ELi1E19rocblas_complex_numIdEPKS1_PS1_EvbiT2_T3_lllS6_lllT4_llli
; %bb.0:
	s_load_b64 s[2:3], s[0:1], 0x8c
	s_wait_kmcnt 0x0
	s_lshr_b32 s4, s2, 16
	s_and_b32 s2, s2, 0xffff
	s_and_b32 s3, s3, 0xffff
	s_mul_i32 s2, s4, s2
	s_delay_alu instid0(SALU_CYCLE_1) | instskip(NEXT) | instid1(SALU_CYCLE_1)
	s_mul_i32 s2, s2, s3
	s_cmp_lg_u32 s2, 0x400
	s_cbranch_scc1 .LBB7_11
; %bb.1:
	s_load_b512 s[4:19], s[0:1], 0x8
	s_wait_kmcnt 0x0
	v_cmp_neq_f64_e64 s2, s[4:5], 0
	v_cmp_neq_f64_e64 s3, s[6:7], 0
	s_or_b32 s2, s2, s3
	s_delay_alu instid0(SALU_CYCLE_1)
	s_and_not1_b32 vcc_lo, exec_lo, s2
	s_cbranch_vccnz .LBB7_11
; %bb.2:
	s_load_b32 s3, s[0:1], 0x78
	s_bfe_u32 s2, ttmp6, 0x40014
	s_lshr_b32 s20, ttmp7, 16
	s_add_co_i32 s2, s2, 1
	s_bfe_u32 s22, ttmp6, 0x40008
	s_mul_i32 s21, s20, s2
	s_getreg_b32 s2, hwreg(HW_REG_IB_STS2, 6, 4)
	s_add_co_i32 s22, s22, s21
	s_cmp_eq_u32 s2, 0
	s_mov_b32 s35, 0
	s_cselect_b32 s34, s20, s22
	s_wait_kmcnt 0x0
	s_cmp_ge_u32 s34, s3
	s_cbranch_scc1 .LBB7_11
; %bb.3:
	s_clause 0x1
	s_load_b64 s[36:37], s[0:1], 0x0
	s_load_b128 s[28:31], s[0:1], 0x68
	s_lshl_b64 s[10:11], s[10:11], 4
	s_lshl_b64 s[38:39], s[18:19], 4
	s_load_b256 s[20:27], s[0:1], 0x48
	v_bfe_u32 v1, v0, 10, 10
	v_and_b32_e32 v0, 0x3ff, v0
	s_add_nc_u64 s[8:9], s[8:9], s[10:11]
	s_add_nc_u64 s[10:11], s[16:17], s[38:39]
	s_wait_kmcnt 0x0
	s_bitcmp1_b32 s36, 0
	s_cselect_b32 s18, -1, 0
	s_lshl_b64 s[0:1], s[28:29], 4
	s_bfe_u32 s28, ttmp6, 0x40010
	s_bfe_u32 s36, ttmp6, 0x4000c
	s_and_b32 s19, ttmp7, 0xffff
	s_add_co_i32 s28, s28, 1
	s_add_co_i32 s36, s36, 1
	s_bfe_u32 s29, ttmp6, 0x40004
	s_and_b32 s33, ttmp6, 15
	s_mul_i32 s28, s19, s28
	s_mul_i32 s36, ttmp9, s36
	s_xor_b32 s18, s18, -1
	s_add_co_i32 s29, s29, s28
	s_add_co_i32 s33, s33, s36
	s_cmp_eq_u32 s2, 0
	s_add_nc_u64 s[0:1], s[24:25], s[0:1]
	s_cselect_b32 s2, s19, s29
	s_delay_alu instid0(SALU_CYCLE_1) | instskip(SKIP_1) | instid1(SALU_CYCLE_1)
	v_lshl_add_u32 v8, s2, 3, v1
	s_cselect_b32 s2, ttmp9, s33
	v_lshl_add_u32 v10, s2, 7, v0
	s_delay_alu instid0(VALU_DEP_1) | instskip(SKIP_1) | instid1(VALU_DEP_2)
	v_dual_ashrrev_i32 v9, 31, v8 :: v_dual_ashrrev_i32 v11, 31, v10
	v_cmp_gt_i32_e32 vcc_lo, s37, v10
	v_mul_u64_e32 v[12:13], s[26:27], v[8:9]
	v_mul_u64_e32 v[0:1], s[20:21], v[8:9]
	;; [unrolled: 1-line block ×5, first 2 shown]
	v_cmp_le_i32_e64 s2, v10, v8
	v_lshl_add_u64 v[12:13], v[12:13], 4, s[0:1]
	v_cmp_le_i32_e64 s0, v8, v10
	v_cmp_gt_i32_e64 s1, s37, v8
	s_delay_alu instid0(VALU_DEP_3)
	v_lshl_add_u64 v[8:9], v[10:11], 4, v[12:13]
	s_and_b32 s0, s0, vcc_lo
	s_and_b32 s1, s2, s1
	s_branch .LBB7_5
.LBB7_4:                                ;   in Loop: Header=BB7_5 Depth=1
	s_wait_xcnt 0x0
	s_or_b32 exec_lo, exec_lo, s2
	s_add_co_i32 s34, s34, 0x10000
	s_delay_alu instid0(SALU_CYCLE_1)
	s_cmp_lt_u32 s34, s3
	s_cbranch_scc0 .LBB7_11
.LBB7_5:                                ; =>This Inner Loop Header: Depth=1
	s_mov_b32 s12, 0
	s_and_b32 vcc_lo, exec_lo, s18
	s_mov_b32 s2, -1
	s_cbranch_vccnz .LBB7_8
; %bb.6:                                ;   in Loop: Header=BB7_5 Depth=1
	s_and_not1_b32 vcc_lo, exec_lo, s2
	s_cbranch_vccz .LBB7_9
.LBB7_7:                                ;   in Loop: Header=BB7_5 Depth=1
	s_and_saveexec_b32 s2, s12
	s_cbranch_execz .LBB7_4
	s_branch .LBB7_10
.LBB7_8:                                ;   in Loop: Header=BB7_5 Depth=1
	s_and_b32 s12, s0, exec_lo
	s_cbranch_execnz .LBB7_7
.LBB7_9:                                ;   in Loop: Header=BB7_5 Depth=1
	s_and_not1_b32 s2, s12, exec_lo
	s_and_b32 s12, s1, exec_lo
	s_delay_alu instid0(SALU_CYCLE_1) | instskip(NEXT) | instid1(SALU_CYCLE_1)
	s_or_b32 s12, s2, s12
	s_and_saveexec_b32 s2, s12
	s_cbranch_execz .LBB7_4
.LBB7_10:                               ;   in Loop: Header=BB7_5 Depth=1
	s_mul_u64 s[12:13], s[14:15], s[34:35]
	s_mul_u64 s[16:17], s[22:23], s[34:35]
	s_lshl_b64 s[12:13], s[12:13], 4
	s_lshl_b64 s[16:17], s[16:17], 4
	s_add_nc_u64 s[12:13], s[8:9], s[12:13]
	s_add_nc_u64 s[16:17], s[10:11], s[16:17]
	v_lshl_add_u64 v[18:19], v[4:5], 4, s[12:13]
	v_lshl_add_u64 v[20:21], v[6:7], 4, s[16:17]
	;; [unrolled: 1-line block ×4, first 2 shown]
	s_mul_u64 s[12:13], s[30:31], s[34:35]
	global_load_b128 v[10:13], v[18:19], off
	s_clause 0x1
	global_load_b128 v[14:17], v[20:21], off
	global_load_b128 v[18:21], v[26:27], off
	;; [unrolled: 1-line block ×3, first 2 shown]
	v_lshl_add_u64 v[30:31], s[12:13], 4, v[8:9]
	global_load_b128 v[26:29], v[30:31], off
	s_wait_loadcnt 0x4
	v_mul_f64_e32 v[32:33], s[4:5], v[12:13]
	s_wait_loadcnt 0x3
	v_mul_f64_e32 v[34:35], s[4:5], v[16:17]
	v_mul_f64_e32 v[12:13], s[6:7], v[12:13]
	;; [unrolled: 1-line block ×3, first 2 shown]
	s_delay_alu instid0(VALU_DEP_4) | instskip(NEXT) | instid1(VALU_DEP_4)
	v_fmac_f64_e32 v[32:33], s[6:7], v[10:11]
	v_fmac_f64_e32 v[34:35], s[6:7], v[14:15]
	s_delay_alu instid0(VALU_DEP_4) | instskip(NEXT) | instid1(VALU_DEP_4)
	v_fma_f64 v[10:11], s[4:5], v[10:11], -v[12:13]
	v_fma_f64 v[12:13], s[4:5], v[14:15], -v[16:17]
	s_wait_loadcnt 0x2
	s_delay_alu instid0(VALU_DEP_4) | instskip(SKIP_4) | instid1(VALU_DEP_4)
	v_mul_f64_e32 v[14:15], v[20:21], v[32:33]
	v_mul_f64_e32 v[16:17], v[18:19], v[32:33]
	s_wait_loadcnt 0x1
	v_mul_f64_e32 v[32:33], v[24:25], v[34:35]
	v_mul_f64_e32 v[34:35], v[22:23], v[34:35]
	v_fma_f64 v[14:15], v[18:19], v[10:11], -v[14:15]
	s_delay_alu instid0(VALU_DEP_4) | instskip(NEXT) | instid1(VALU_DEP_4)
	v_fmac_f64_e32 v[16:17], v[20:21], v[10:11]
	v_fma_f64 v[10:11], v[22:23], v[12:13], -v[32:33]
	s_delay_alu instid0(VALU_DEP_4) | instskip(NEXT) | instid1(VALU_DEP_2)
	v_fmac_f64_e32 v[34:35], v[24:25], v[12:13]
	v_add_f64_e32 v[10:11], v[14:15], v[10:11]
	s_delay_alu instid0(VALU_DEP_2) | instskip(SKIP_1) | instid1(VALU_DEP_2)
	v_add_f64_e32 v[12:13], v[16:17], v[34:35]
	s_wait_loadcnt 0x0
	v_add_f64_e32 v[10:11], v[26:27], v[10:11]
	s_delay_alu instid0(VALU_DEP_2)
	v_add_f64_e32 v[12:13], v[28:29], v[12:13]
	global_store_b128 v[30:31], v[10:13], off
	s_branch .LBB7_4
.LBB7_11:
	s_endpgm
	.section	.rodata,"a",@progbits
	.p2align	6, 0x0
	.amdhsa_kernel _ZL19rocblas_syr2_kernelILi128ELi8ELi1E19rocblas_complex_numIdEPKS1_PS1_EvbiT2_T3_lllS6_lllT4_llli
		.amdhsa_group_segment_fixed_size 0
		.amdhsa_private_segment_fixed_size 0
		.amdhsa_kernarg_size 384
		.amdhsa_user_sgpr_count 2
		.amdhsa_user_sgpr_dispatch_ptr 0
		.amdhsa_user_sgpr_queue_ptr 0
		.amdhsa_user_sgpr_kernarg_segment_ptr 1
		.amdhsa_user_sgpr_dispatch_id 0
		.amdhsa_user_sgpr_kernarg_preload_length 0
		.amdhsa_user_sgpr_kernarg_preload_offset 0
		.amdhsa_user_sgpr_private_segment_size 0
		.amdhsa_wavefront_size32 1
		.amdhsa_uses_dynamic_stack 0
		.amdhsa_enable_private_segment 0
		.amdhsa_system_sgpr_workgroup_id_x 1
		.amdhsa_system_sgpr_workgroup_id_y 1
		.amdhsa_system_sgpr_workgroup_id_z 1
		.amdhsa_system_sgpr_workgroup_info 0
		.amdhsa_system_vgpr_workitem_id 1
		.amdhsa_next_free_vgpr 36
		.amdhsa_next_free_sgpr 40
		.amdhsa_named_barrier_count 0
		.amdhsa_reserve_vcc 1
		.amdhsa_float_round_mode_32 0
		.amdhsa_float_round_mode_16_64 0
		.amdhsa_float_denorm_mode_32 3
		.amdhsa_float_denorm_mode_16_64 3
		.amdhsa_fp16_overflow 0
		.amdhsa_memory_ordered 1
		.amdhsa_forward_progress 1
		.amdhsa_inst_pref_size 7
		.amdhsa_round_robin_scheduling 0
		.amdhsa_exception_fp_ieee_invalid_op 0
		.amdhsa_exception_fp_denorm_src 0
		.amdhsa_exception_fp_ieee_div_zero 0
		.amdhsa_exception_fp_ieee_overflow 0
		.amdhsa_exception_fp_ieee_underflow 0
		.amdhsa_exception_fp_ieee_inexact 0
		.amdhsa_exception_int_div_zero 0
	.end_amdhsa_kernel
	.section	.text._ZL19rocblas_syr2_kernelILi128ELi8ELi1E19rocblas_complex_numIdEPKS1_PS1_EvbiT2_T3_lllS6_lllT4_llli,"axG",@progbits,_ZL19rocblas_syr2_kernelILi128ELi8ELi1E19rocblas_complex_numIdEPKS1_PS1_EvbiT2_T3_lllS6_lllT4_llli,comdat
.Lfunc_end7:
	.size	_ZL19rocblas_syr2_kernelILi128ELi8ELi1E19rocblas_complex_numIdEPKS1_PS1_EvbiT2_T3_lllS6_lllT4_llli, .Lfunc_end7-_ZL19rocblas_syr2_kernelILi128ELi8ELi1E19rocblas_complex_numIdEPKS1_PS1_EvbiT2_T3_lllS6_lllT4_llli
                                        ; -- End function
	.set _ZL19rocblas_syr2_kernelILi128ELi8ELi1E19rocblas_complex_numIdEPKS1_PS1_EvbiT2_T3_lllS6_lllT4_llli.num_vgpr, 36
	.set _ZL19rocblas_syr2_kernelILi128ELi8ELi1E19rocblas_complex_numIdEPKS1_PS1_EvbiT2_T3_lllS6_lllT4_llli.num_agpr, 0
	.set _ZL19rocblas_syr2_kernelILi128ELi8ELi1E19rocblas_complex_numIdEPKS1_PS1_EvbiT2_T3_lllS6_lllT4_llli.numbered_sgpr, 40
	.set _ZL19rocblas_syr2_kernelILi128ELi8ELi1E19rocblas_complex_numIdEPKS1_PS1_EvbiT2_T3_lllS6_lllT4_llli.num_named_barrier, 0
	.set _ZL19rocblas_syr2_kernelILi128ELi8ELi1E19rocblas_complex_numIdEPKS1_PS1_EvbiT2_T3_lllS6_lllT4_llli.private_seg_size, 0
	.set _ZL19rocblas_syr2_kernelILi128ELi8ELi1E19rocblas_complex_numIdEPKS1_PS1_EvbiT2_T3_lllS6_lllT4_llli.uses_vcc, 1
	.set _ZL19rocblas_syr2_kernelILi128ELi8ELi1E19rocblas_complex_numIdEPKS1_PS1_EvbiT2_T3_lllS6_lllT4_llli.uses_flat_scratch, 0
	.set _ZL19rocblas_syr2_kernelILi128ELi8ELi1E19rocblas_complex_numIdEPKS1_PS1_EvbiT2_T3_lllS6_lllT4_llli.has_dyn_sized_stack, 0
	.set _ZL19rocblas_syr2_kernelILi128ELi8ELi1E19rocblas_complex_numIdEPKS1_PS1_EvbiT2_T3_lllS6_lllT4_llli.has_recursion, 0
	.set _ZL19rocblas_syr2_kernelILi128ELi8ELi1E19rocblas_complex_numIdEPKS1_PS1_EvbiT2_T3_lllS6_lllT4_llli.has_indirect_call, 0
	.section	.AMDGPU.csdata,"",@progbits
; Kernel info:
; codeLenInByte = 832
; TotalNumSgprs: 42
; NumVgprs: 36
; ScratchSize: 0
; MemoryBound: 0
; FloatMode: 240
; IeeeMode: 1
; LDSByteSize: 0 bytes/workgroup (compile time only)
; SGPRBlocks: 0
; VGPRBlocks: 2
; NumSGPRsForWavesPerEU: 42
; NumVGPRsForWavesPerEU: 36
; NamedBarCnt: 0
; Occupancy: 16
; WaveLimiterHint : 1
; COMPUTE_PGM_RSRC2:SCRATCH_EN: 0
; COMPUTE_PGM_RSRC2:USER_SGPR: 2
; COMPUTE_PGM_RSRC2:TRAP_HANDLER: 0
; COMPUTE_PGM_RSRC2:TGID_X_EN: 1
; COMPUTE_PGM_RSRC2:TGID_Y_EN: 1
; COMPUTE_PGM_RSRC2:TGID_Z_EN: 1
; COMPUTE_PGM_RSRC2:TIDIG_COMP_CNT: 1
	.section	.text._ZL19rocblas_syr2_kernelILi128ELi8ELi2EPKfPKS1_PKPfEvbiT2_T3_lllS8_lllT4_llli,"axG",@progbits,_ZL19rocblas_syr2_kernelILi128ELi8ELi2EPKfPKS1_PKPfEvbiT2_T3_lllS8_lllT4_llli,comdat
	.globl	_ZL19rocblas_syr2_kernelILi128ELi8ELi2EPKfPKS1_PKPfEvbiT2_T3_lllS8_lllT4_llli ; -- Begin function _ZL19rocblas_syr2_kernelILi128ELi8ELi2EPKfPKS1_PKPfEvbiT2_T3_lllS8_lllT4_llli
	.p2align	8
	.type	_ZL19rocblas_syr2_kernelILi128ELi8ELi2EPKfPKS1_PKPfEvbiT2_T3_lllS8_lllT4_llli,@function
_ZL19rocblas_syr2_kernelILi128ELi8ELi2EPKfPKS1_PKPfEvbiT2_T3_lllS8_lllT4_llli: ; @_ZL19rocblas_syr2_kernelILi128ELi8ELi2EPKfPKS1_PKPfEvbiT2_T3_lllS8_lllT4_llli
; %bb.0:
	s_load_b64 s[2:3], s[0:1], 0x84
	s_wait_kmcnt 0x0
	s_lshr_b32 s4, s2, 16
	s_and_b32 s2, s2, 0xffff
	s_and_b32 s3, s3, 0xffff
	s_mul_i32 s2, s4, s2
	s_delay_alu instid0(SALU_CYCLE_1) | instskip(NEXT) | instid1(SALU_CYCLE_1)
	s_mul_i32 s2, s2, s3
	s_cmp_lg_u32 s2, 0x400
	s_cbranch_scc1 .LBB8_16
; %bb.1:
	s_load_b256 s[4:11], s[0:1], 0x8
	s_bfe_u32 s2, ttmp6, 0x40014
	s_lshr_b32 s3, ttmp7, 16
	s_add_co_i32 s2, s2, 1
	s_wait_kmcnt 0x0
	s_load_b32 s20, s[4:5], 0x0
	s_load_b32 s22, s[0:1], 0x70
	s_wait_xcnt 0x0
	s_bfe_u32 s4, ttmp6, 0x40008
	s_mul_i32 s5, s3, s2
	s_getreg_b32 s2, hwreg(HW_REG_IB_STS2, 6, 4)
	s_add_co_i32 s4, s4, s5
	s_cmp_eq_u32 s2, 0
	s_cselect_b32 s23, s3, s4
	s_wait_kmcnt 0x0
	s_cmp_eq_f32 s20, 0
	s_cselect_b32 s3, -1, 0
	s_cmp_ge_u32 s23, s22
	s_cselect_b32 s4, -1, 0
	s_delay_alu instid0(SALU_CYCLE_1) | instskip(NEXT) | instid1(SALU_CYCLE_1)
	s_or_b32 s3, s3, s4
	s_and_b32 vcc_lo, exec_lo, s3
	s_cbranch_vccnz .LBB8_16
; %bb.2:
	s_clause 0x3
	s_load_b64 s[4:5], s[0:1], 0x0
	s_load_b128 s[12:15], s[0:1], 0x30
	s_load_b64 s[26:27], s[0:1], 0x40
	s_load_b128 s[16:19], s[0:1], 0x50
	v_and_b32_e32 v1, 0x3ff, v0
	v_bfe_u32 v0, v0, 10, 10
	s_wait_kmcnt 0x0
	s_bitcmp1_b32 s4, 0
	s_cselect_b32 s3, -1, 0
	s_bfe_u32 s21, ttmp6, 0x40010
	s_bfe_u32 s29, ttmp6, 0x4000c
	s_and_b32 s4, ttmp7, 0xffff
	s_add_co_i32 s21, s21, 1
	s_add_co_i32 s29, s29, 1
	s_bfe_u32 s25, ttmp6, 0x40004
	s_and_b32 s28, ttmp6, 15
	s_xor_b32 s24, s3, -1
	s_mul_i32 s3, s4, s21
	s_mul_i32 s21, ttmp9, s29
	s_add_co_i32 s25, s25, s3
	s_add_co_i32 s28, s28, s21
	s_cmp_eq_u32 s2, 0
	s_mov_b32 s21, s20
	s_cselect_b32 s2, s4, s25
	s_cselect_b32 s3, ttmp9, s28
	v_lshl_add_u32 v16, s2, 3, v0
	v_lshl_add_u32 v0, s3, 8, v1
	s_delay_alu instid0(VALU_DEP_2) | instskip(NEXT) | instid1(VALU_DEP_2)
	v_cmp_gt_i32_e32 vcc_lo, s5, v16
	v_add_nc_u32_e32 v18, 0x80, v0
	v_ashrrev_i32_e32 v17, 31, v16
	v_ashrrev_i32_e32 v1, 31, v0
	v_cmp_le_i32_e64 s2, v0, v16
	s_delay_alu instid0(VALU_DEP_4) | instskip(NEXT) | instid1(VALU_DEP_4)
	v_ashrrev_i32_e32 v19, 31, v18
	v_mul_u64_e32 v[2:3], s[26:27], v[16:17]
	v_mul_u64_e32 v[4:5], s[10:11], v[16:17]
	;; [unrolled: 1-line block ×7, first 2 shown]
	s_load_b64 s[10:11], s[0:1], 0x60
	s_wait_xcnt 0x0
	v_cmp_gt_i32_e64 s0, s5, v0
	v_cmp_le_i32_e64 s1, v16, v0
	v_cmp_gt_i32_e64 s3, s5, v18
	v_cmp_le_i32_e64 s4, v16, v18
	v_cmp_le_i32_e64 s5, v18, v16
	s_and_b32 s19, s2, vcc_lo
	s_and_b32 s18, s1, s0
	s_and_b32 s25, s3, s4
	s_and_b32 s26, vcc_lo, s5
	s_lshl_b64 s[2:3], s[8:9], 2
	s_lshl_b64 s[4:5], s[14:15], 2
	s_wait_kmcnt 0x0
	s_lshl_b64 s[0:1], s[10:11], 2
	s_branch .LBB8_4
.LBB8_3:                                ;   in Loop: Header=BB8_4 Depth=1
	s_wait_xcnt 0x0
	s_or_b32 exec_lo, exec_lo, s14
	s_add_co_i32 s23, s23, 0x10000
	s_delay_alu instid0(SALU_CYCLE_1)
	s_cmp_lt_u32 s23, s22
	s_cbranch_scc0 .LBB8_16
.LBB8_4:                                ; =>This Inner Loop Header: Depth=1
	s_mov_b32 s14, 0
	s_and_b32 vcc_lo, exec_lo, s24
	s_mov_b32 s8, -1
	s_cbranch_vccz .LBB8_6
; %bb.5:                                ;   in Loop: Header=BB8_4 Depth=1
	s_mov_b32 s8, 0
	s_and_b32 s14, s18, exec_lo
.LBB8_6:                                ;   in Loop: Header=BB8_4 Depth=1
	s_and_not1_b32 vcc_lo, exec_lo, s8
	s_cbranch_vccnz .LBB8_8
; %bb.7:                                ;   in Loop: Header=BB8_4 Depth=1
	s_and_not1_b32 s8, s14, exec_lo
	s_and_b32 s9, s19, exec_lo
	s_delay_alu instid0(SALU_CYCLE_1)
	s_or_b32 s14, s8, s9
.LBB8_8:                                ;   in Loop: Header=BB8_4 Depth=1
	s_load_b64 s[8:9], s[16:17], s23 offset:0x0 scale_offset
	s_load_b64 s[10:11], s[12:13], s23 offset:0x0 scale_offset
	;; [unrolled: 1-line block ×3, first 2 shown]
	s_wait_kmcnt 0x0
	s_add_nc_u64 s[8:9], s[8:9], s[0:1]
	s_delay_alu instid0(SALU_CYCLE_1)
	v_lshl_add_u64 v[16:17], v[6:7], 2, s[8:9]
	s_add_nc_u64 s[8:9], s[10:11], s[4:5]
	s_add_nc_u64 s[10:11], s[28:29], s[2:3]
	v_lshl_add_u64 v[18:19], v[2:3], 2, s[8:9]
	v_lshl_add_u64 v[20:21], v[4:5], 2, s[10:11]
	;; [unrolled: 1-line block ×3, first 2 shown]
	s_and_saveexec_b32 s15, s14
	s_cbranch_execz .LBB8_10
; %bb.9:                                ;   in Loop: Header=BB8_4 Depth=1
	v_lshl_add_u64 v[22:23], v[8:9], 2, s[10:11]
	v_lshl_add_u64 v[24:25], v[10:11], 2, s[8:9]
	flat_load_b32 v26, v[22:23]
	s_clause 0x1
	flat_load_b32 v27, v[24:25]
	flat_load_b32 v28, v[18:19]
	;; [unrolled: 1-line block ×4, first 2 shown]
	s_wait_xcnt 0x4
	v_mov_b64_e32 v[22:23], s[20:21]
	s_wait_loadcnt_dscnt 0x303
	s_delay_alu instid0(VALU_DEP_1) | instskip(SKIP_1) | instid1(VALU_DEP_1)
	v_pk_mul_f32 v[22:23], v[22:23], v[26:27]
	s_wait_loadcnt_dscnt 0x101
	v_pk_mul_f32 v[22:23], v[22:23], v[28:29]
	s_delay_alu instid0(VALU_DEP_1) | instskip(SKIP_1) | instid1(VALU_DEP_1)
	v_add_f32_e32 v22, v22, v23
	s_wait_loadcnt_dscnt 0x0
	v_add_f32_e32 v22, v30, v22
	flat_store_b32 v[16:17], v22
.LBB8_10:                               ;   in Loop: Header=BB8_4 Depth=1
	s_wait_xcnt 0x0
	s_or_b32 exec_lo, exec_lo, s15
	s_delay_alu instid0(SALU_CYCLE_1)
	s_and_not1_b32 vcc_lo, exec_lo, s24
	s_cbranch_vccnz .LBB8_12
; %bb.11:                               ;   in Loop: Header=BB8_4 Depth=1
	s_and_b32 s15, s25, exec_lo
	s_cbranch_execz .LBB8_13
	s_branch .LBB8_14
.LBB8_12:                               ;   in Loop: Header=BB8_4 Depth=1
	s_mov_b32 s15, 0
.LBB8_13:                               ;   in Loop: Header=BB8_4 Depth=1
	s_delay_alu instid0(SALU_CYCLE_1) | instskip(SKIP_1) | instid1(SALU_CYCLE_1)
	s_and_not1_b32 s14, s15, exec_lo
	s_and_b32 s15, s26, exec_lo
	s_or_b32 s15, s14, s15
.LBB8_14:                               ;   in Loop: Header=BB8_4 Depth=1
	s_delay_alu instid0(SALU_CYCLE_1)
	s_and_saveexec_b32 s14, s15
	s_cbranch_execz .LBB8_3
; %bb.15:                               ;   in Loop: Header=BB8_4 Depth=1
	v_lshl_add_u64 v[22:23], v[12:13], 2, s[10:11]
	v_lshl_add_u64 v[24:25], v[14:15], 2, s[8:9]
	flat_load_b32 v26, v[22:23]
	s_clause 0x1
	flat_load_b32 v27, v[24:25]
	flat_load_b32 v28, v[18:19]
	;; [unrolled: 1-line block ×3, first 2 shown]
	flat_load_b32 v30, v[16:17] offset:512
	s_wait_xcnt 0x2
	v_mov_b64_e32 v[18:19], s[20:21]
	s_wait_loadcnt_dscnt 0x303
	s_delay_alu instid0(VALU_DEP_1) | instskip(SKIP_1) | instid1(VALU_DEP_1)
	v_pk_mul_f32 v[18:19], v[18:19], v[26:27]
	s_wait_loadcnt_dscnt 0x101
	v_pk_mul_f32 v[18:19], v[18:19], v[28:29]
	s_delay_alu instid0(VALU_DEP_1) | instskip(SKIP_1) | instid1(VALU_DEP_1)
	v_add_f32_e32 v18, v18, v19
	s_wait_loadcnt_dscnt 0x0
	v_add_f32_e32 v18, v30, v18
	flat_store_b32 v[16:17], v18 offset:512
	s_branch .LBB8_3
.LBB8_16:
	s_endpgm
	.section	.rodata,"a",@progbits
	.p2align	6, 0x0
	.amdhsa_kernel _ZL19rocblas_syr2_kernelILi128ELi8ELi2EPKfPKS1_PKPfEvbiT2_T3_lllS8_lllT4_llli
		.amdhsa_group_segment_fixed_size 0
		.amdhsa_private_segment_fixed_size 0
		.amdhsa_kernarg_size 376
		.amdhsa_user_sgpr_count 2
		.amdhsa_user_sgpr_dispatch_ptr 0
		.amdhsa_user_sgpr_queue_ptr 0
		.amdhsa_user_sgpr_kernarg_segment_ptr 1
		.amdhsa_user_sgpr_dispatch_id 0
		.amdhsa_user_sgpr_kernarg_preload_length 0
		.amdhsa_user_sgpr_kernarg_preload_offset 0
		.amdhsa_user_sgpr_private_segment_size 0
		.amdhsa_wavefront_size32 1
		.amdhsa_uses_dynamic_stack 0
		.amdhsa_enable_private_segment 0
		.amdhsa_system_sgpr_workgroup_id_x 1
		.amdhsa_system_sgpr_workgroup_id_y 1
		.amdhsa_system_sgpr_workgroup_id_z 1
		.amdhsa_system_sgpr_workgroup_info 0
		.amdhsa_system_vgpr_workitem_id 1
		.amdhsa_next_free_vgpr 31
		.amdhsa_next_free_sgpr 30
		.amdhsa_named_barrier_count 0
		.amdhsa_reserve_vcc 1
		.amdhsa_float_round_mode_32 0
		.amdhsa_float_round_mode_16_64 0
		.amdhsa_float_denorm_mode_32 3
		.amdhsa_float_denorm_mode_16_64 3
		.amdhsa_fp16_overflow 0
		.amdhsa_memory_ordered 1
		.amdhsa_forward_progress 1
		.amdhsa_inst_pref_size 8
		.amdhsa_round_robin_scheduling 0
		.amdhsa_exception_fp_ieee_invalid_op 0
		.amdhsa_exception_fp_denorm_src 0
		.amdhsa_exception_fp_ieee_div_zero 0
		.amdhsa_exception_fp_ieee_overflow 0
		.amdhsa_exception_fp_ieee_underflow 0
		.amdhsa_exception_fp_ieee_inexact 0
		.amdhsa_exception_int_div_zero 0
	.end_amdhsa_kernel
	.section	.text._ZL19rocblas_syr2_kernelILi128ELi8ELi2EPKfPKS1_PKPfEvbiT2_T3_lllS8_lllT4_llli,"axG",@progbits,_ZL19rocblas_syr2_kernelILi128ELi8ELi2EPKfPKS1_PKPfEvbiT2_T3_lllS8_lllT4_llli,comdat
.Lfunc_end8:
	.size	_ZL19rocblas_syr2_kernelILi128ELi8ELi2EPKfPKS1_PKPfEvbiT2_T3_lllS8_lllT4_llli, .Lfunc_end8-_ZL19rocblas_syr2_kernelILi128ELi8ELi2EPKfPKS1_PKPfEvbiT2_T3_lllS8_lllT4_llli
                                        ; -- End function
	.set _ZL19rocblas_syr2_kernelILi128ELi8ELi2EPKfPKS1_PKPfEvbiT2_T3_lllS8_lllT4_llli.num_vgpr, 31
	.set _ZL19rocblas_syr2_kernelILi128ELi8ELi2EPKfPKS1_PKPfEvbiT2_T3_lllS8_lllT4_llli.num_agpr, 0
	.set _ZL19rocblas_syr2_kernelILi128ELi8ELi2EPKfPKS1_PKPfEvbiT2_T3_lllS8_lllT4_llli.numbered_sgpr, 30
	.set _ZL19rocblas_syr2_kernelILi128ELi8ELi2EPKfPKS1_PKPfEvbiT2_T3_lllS8_lllT4_llli.num_named_barrier, 0
	.set _ZL19rocblas_syr2_kernelILi128ELi8ELi2EPKfPKS1_PKPfEvbiT2_T3_lllS8_lllT4_llli.private_seg_size, 0
	.set _ZL19rocblas_syr2_kernelILi128ELi8ELi2EPKfPKS1_PKPfEvbiT2_T3_lllS8_lllT4_llli.uses_vcc, 1
	.set _ZL19rocblas_syr2_kernelILi128ELi8ELi2EPKfPKS1_PKPfEvbiT2_T3_lllS8_lllT4_llli.uses_flat_scratch, 1
	.set _ZL19rocblas_syr2_kernelILi128ELi8ELi2EPKfPKS1_PKPfEvbiT2_T3_lllS8_lllT4_llli.has_dyn_sized_stack, 0
	.set _ZL19rocblas_syr2_kernelILi128ELi8ELi2EPKfPKS1_PKPfEvbiT2_T3_lllS8_lllT4_llli.has_recursion, 0
	.set _ZL19rocblas_syr2_kernelILi128ELi8ELi2EPKfPKS1_PKPfEvbiT2_T3_lllS8_lllT4_llli.has_indirect_call, 0
	.section	.AMDGPU.csdata,"",@progbits
; Kernel info:
; codeLenInByte = 1004
; TotalNumSgprs: 32
; NumVgprs: 31
; ScratchSize: 0
; MemoryBound: 0
; FloatMode: 240
; IeeeMode: 1
; LDSByteSize: 0 bytes/workgroup (compile time only)
; SGPRBlocks: 0
; VGPRBlocks: 1
; NumSGPRsForWavesPerEU: 32
; NumVGPRsForWavesPerEU: 31
; NamedBarCnt: 0
; Occupancy: 16
; WaveLimiterHint : 1
; COMPUTE_PGM_RSRC2:SCRATCH_EN: 0
; COMPUTE_PGM_RSRC2:USER_SGPR: 2
; COMPUTE_PGM_RSRC2:TRAP_HANDLER: 0
; COMPUTE_PGM_RSRC2:TGID_X_EN: 1
; COMPUTE_PGM_RSRC2:TGID_Y_EN: 1
; COMPUTE_PGM_RSRC2:TGID_Z_EN: 1
; COMPUTE_PGM_RSRC2:TIDIG_COMP_CNT: 1
	.section	.text._ZL19rocblas_syr2_kernelILi128ELi8ELi2EfPKPKfPKPfEvbiT2_T3_lllS8_lllT4_llli,"axG",@progbits,_ZL19rocblas_syr2_kernelILi128ELi8ELi2EfPKPKfPKPfEvbiT2_T3_lllS8_lllT4_llli,comdat
	.globl	_ZL19rocblas_syr2_kernelILi128ELi8ELi2EfPKPKfPKPfEvbiT2_T3_lllS8_lllT4_llli ; -- Begin function _ZL19rocblas_syr2_kernelILi128ELi8ELi2EfPKPKfPKPfEvbiT2_T3_lllS8_lllT4_llli
	.p2align	8
	.type	_ZL19rocblas_syr2_kernelILi128ELi8ELi2EfPKPKfPKPfEvbiT2_T3_lllS8_lllT4_llli,@function
_ZL19rocblas_syr2_kernelILi128ELi8ELi2EfPKPKfPKPfEvbiT2_T3_lllS8_lllT4_llli: ; @_ZL19rocblas_syr2_kernelILi128ELi8ELi2EfPKPKfPKPfEvbiT2_T3_lllS8_lllT4_llli
; %bb.0:
	s_clause 0x2
	s_load_b64 s[8:9], s[0:1], 0x84
	s_load_b96 s[4:6], s[0:1], 0x0
	s_load_b32 s20, s[0:1], 0x70
	s_bfe_u32 s2, ttmp6, 0x40014
	s_lshr_b32 s3, ttmp7, 16
	s_add_co_i32 s2, s2, 1
	s_bfe_u32 s7, ttmp6, 0x40008
	s_mul_i32 s10, s3, s2
	s_getreg_b32 s2, hwreg(HW_REG_IB_STS2, 6, 4)
	s_add_co_i32 s7, s7, s10
	s_wait_kmcnt 0x0
	s_lshr_b32 s10, s8, 16
	s_and_b32 s8, s8, 0xffff
	s_and_b32 s9, s9, 0xffff
	s_mul_i32 s8, s10, s8
	s_cmp_eq_u32 s2, 0
	s_mul_i32 s8, s8, s9
	s_cselect_b32 s21, s3, s7
	s_cmp_lg_u32 s8, 0x400
	s_cselect_b32 s3, -1, 0
	s_cmp_eq_f32 s6, 0
	s_cselect_b32 s7, -1, 0
	s_delay_alu instid0(SALU_CYCLE_1) | instskip(SKIP_2) | instid1(SALU_CYCLE_1)
	s_or_b32 s3, s7, s3
	s_cmp_ge_u32 s21, s20
	s_cselect_b32 s7, -1, 0
	s_or_b32 s3, s3, s7
	s_delay_alu instid0(SALU_CYCLE_1)
	s_and_b32 vcc_lo, exec_lo, s3
	s_cbranch_vccnz .LBB9_15
; %bb.1:
	s_bitcmp1_b32 s4, 0
	s_clause 0x1
	s_load_b64 s[12:13], s[0:1], 0x20
	s_load_b64 s[14:15], s[0:1], 0x40
	s_cselect_b32 s3, -1, 0
	s_bfe_u32 s7, ttmp6, 0x4000c
	s_xor_b32 s22, s3, -1
	s_bfe_u32 s3, ttmp6, 0x40010
	s_and_b32 s4, ttmp7, 0xffff
	s_add_co_i32 s3, s3, 1
	s_add_co_i32 s7, s7, 1
	s_mul_i32 s3, s4, s3
	s_bfe_u32 s16, ttmp6, 0x40004
	s_and_b32 s17, ttmp6, 15
	s_mul_i32 s7, ttmp9, s7
	s_load_b128 s[8:11], s[0:1], 0x50
	s_add_co_i32 s16, s16, s3
	s_add_co_i32 s17, s17, s7
	v_bfe_u32 v1, v0, 10, 10
	v_and_b32_e32 v0, 0x3ff, v0
	s_cmp_eq_u32 s2, 0
	s_cselect_b32 s3, ttmp9, s17
	s_cselect_b32 s2, s4, s16
	s_delay_alu instid0(VALU_DEP_1) | instskip(SKIP_1) | instid1(VALU_DEP_2)
	v_lshl_add_u32 v0, s3, 8, v0
	v_lshl_add_u32 v16, s2, 3, v1
	v_add_nc_u32_e32 v18, 0x80, v0
	s_delay_alu instid0(VALU_DEP_2)
	v_ashrrev_i32_e32 v17, 31, v16
	v_ashrrev_i32_e32 v1, 31, v0
	v_cmp_gt_i32_e32 vcc_lo, s5, v16
	v_cmp_le_i32_e64 s2, v0, v16
	v_ashrrev_i32_e32 v19, 31, v18
	s_wait_kmcnt 0x0
	v_mul_u64_e32 v[2:3], s[14:15], v[16:17]
	v_mul_u64_e32 v[4:5], s[12:13], v[16:17]
	;; [unrolled: 1-line block ×7, first 2 shown]
	s_clause 0x2
	s_load_b64 s[10:11], s[0:1], 0x60
	s_load_b128 s[12:15], s[0:1], 0x10
	s_load_b128 s[16:19], s[0:1], 0x30
	s_wait_xcnt 0x0
	v_cmp_gt_i32_e64 s0, s5, v0
	v_cmp_le_i32_e64 s1, v16, v0
	v_cmp_gt_i32_e64 s3, s5, v18
	v_cmp_le_i32_e64 s4, v16, v18
	v_cmp_le_i32_e64 s5, v18, v16
	s_and_b32 s24, s2, vcc_lo
	s_and_b32 s23, s1, s0
	s_mov_b32 s0, s6
	s_and_b32 s25, s3, s4
	s_and_b32 s26, vcc_lo, s5
	s_mov_b32 s1, s6
	s_wait_kmcnt 0x0
	s_lshl_b64 s[2:3], s[10:11], 2
	s_lshl_b64 s[4:5], s[14:15], 2
	;; [unrolled: 1-line block ×3, first 2 shown]
	s_branch .LBB9_3
.LBB9_2:                                ;   in Loop: Header=BB9_3 Depth=1
	s_wait_xcnt 0x0
	s_or_b32 exec_lo, exec_lo, s18
	s_add_co_i32 s21, s21, 0x10000
	s_delay_alu instid0(SALU_CYCLE_1)
	s_cmp_lt_u32 s21, s20
	s_cbranch_scc0 .LBB9_15
.LBB9_3:                                ; =>This Inner Loop Header: Depth=1
	s_mov_b32 s18, 0
	s_and_b32 vcc_lo, exec_lo, s22
	s_mov_b32 s10, -1
	s_cbranch_vccz .LBB9_5
; %bb.4:                                ;   in Loop: Header=BB9_3 Depth=1
	s_mov_b32 s10, 0
	s_and_b32 s18, s23, exec_lo
.LBB9_5:                                ;   in Loop: Header=BB9_3 Depth=1
	s_and_not1_b32 vcc_lo, exec_lo, s10
	s_cbranch_vccnz .LBB9_7
; %bb.6:                                ;   in Loop: Header=BB9_3 Depth=1
	s_and_not1_b32 s10, s18, exec_lo
	s_and_b32 s11, s24, exec_lo
	s_delay_alu instid0(SALU_CYCLE_1)
	s_or_b32 s18, s10, s11
.LBB9_7:                                ;   in Loop: Header=BB9_3 Depth=1
	s_load_b64 s[10:11], s[8:9], s21 offset:0x0 scale_offset
	s_load_b64 s[14:15], s[16:17], s21 offset:0x0 scale_offset
	;; [unrolled: 1-line block ×3, first 2 shown]
	s_wait_kmcnt 0x0
	s_add_nc_u64 s[10:11], s[10:11], s[2:3]
	s_delay_alu instid0(SALU_CYCLE_1)
	v_lshl_add_u64 v[16:17], v[6:7], 2, s[10:11]
	s_add_nc_u64 s[10:11], s[14:15], s[6:7]
	s_add_nc_u64 s[14:15], s[28:29], s[4:5]
	v_lshl_add_u64 v[18:19], v[2:3], 2, s[10:11]
	v_lshl_add_u64 v[20:21], v[4:5], 2, s[14:15]
	v_lshl_add_u64 v[16:17], v[0:1], 2, v[16:17]
	s_and_saveexec_b32 s19, s18
	s_cbranch_execz .LBB9_9
; %bb.8:                                ;   in Loop: Header=BB9_3 Depth=1
	v_lshl_add_u64 v[22:23], v[8:9], 2, s[14:15]
	v_lshl_add_u64 v[24:25], v[10:11], 2, s[10:11]
	flat_load_b32 v26, v[22:23]
	s_clause 0x1
	flat_load_b32 v27, v[24:25]
	flat_load_b32 v28, v[18:19]
	;; [unrolled: 1-line block ×4, first 2 shown]
	s_wait_xcnt 0x4
	v_mov_b64_e32 v[22:23], s[0:1]
	s_wait_loadcnt_dscnt 0x303
	s_delay_alu instid0(VALU_DEP_1) | instskip(SKIP_1) | instid1(VALU_DEP_1)
	v_pk_mul_f32 v[22:23], v[22:23], v[26:27]
	s_wait_loadcnt_dscnt 0x101
	v_pk_mul_f32 v[22:23], v[22:23], v[28:29]
	s_delay_alu instid0(VALU_DEP_1) | instskip(SKIP_1) | instid1(VALU_DEP_1)
	v_add_f32_e32 v22, v22, v23
	s_wait_loadcnt_dscnt 0x0
	v_add_f32_e32 v22, v30, v22
	flat_store_b32 v[16:17], v22
.LBB9_9:                                ;   in Loop: Header=BB9_3 Depth=1
	s_wait_xcnt 0x0
	s_or_b32 exec_lo, exec_lo, s19
	s_delay_alu instid0(SALU_CYCLE_1)
	s_and_not1_b32 vcc_lo, exec_lo, s22
	s_cbranch_vccnz .LBB9_11
; %bb.10:                               ;   in Loop: Header=BB9_3 Depth=1
	s_and_b32 s19, s25, exec_lo
	s_cbranch_execz .LBB9_12
	s_branch .LBB9_13
.LBB9_11:                               ;   in Loop: Header=BB9_3 Depth=1
	s_mov_b32 s19, 0
.LBB9_12:                               ;   in Loop: Header=BB9_3 Depth=1
	s_delay_alu instid0(SALU_CYCLE_1) | instskip(SKIP_1) | instid1(SALU_CYCLE_1)
	s_and_not1_b32 s18, s19, exec_lo
	s_and_b32 s19, s26, exec_lo
	s_or_b32 s19, s18, s19
.LBB9_13:                               ;   in Loop: Header=BB9_3 Depth=1
	s_delay_alu instid0(SALU_CYCLE_1)
	s_and_saveexec_b32 s18, s19
	s_cbranch_execz .LBB9_2
; %bb.14:                               ;   in Loop: Header=BB9_3 Depth=1
	v_lshl_add_u64 v[22:23], v[12:13], 2, s[14:15]
	v_lshl_add_u64 v[24:25], v[14:15], 2, s[10:11]
	flat_load_b32 v26, v[22:23]
	s_clause 0x1
	flat_load_b32 v27, v[24:25]
	flat_load_b32 v28, v[18:19]
	;; [unrolled: 1-line block ×3, first 2 shown]
	flat_load_b32 v30, v[16:17] offset:512
	s_wait_xcnt 0x2
	v_mov_b64_e32 v[18:19], s[0:1]
	s_wait_loadcnt_dscnt 0x303
	s_delay_alu instid0(VALU_DEP_1) | instskip(SKIP_1) | instid1(VALU_DEP_1)
	v_pk_mul_f32 v[18:19], v[18:19], v[26:27]
	s_wait_loadcnt_dscnt 0x101
	v_pk_mul_f32 v[18:19], v[18:19], v[28:29]
	s_delay_alu instid0(VALU_DEP_1) | instskip(SKIP_1) | instid1(VALU_DEP_1)
	v_add_f32_e32 v18, v18, v19
	s_wait_loadcnt_dscnt 0x0
	v_add_f32_e32 v18, v30, v18
	flat_store_b32 v[16:17], v18 offset:512
	s_branch .LBB9_2
.LBB9_15:
	s_endpgm
	.section	.rodata,"a",@progbits
	.p2align	6, 0x0
	.amdhsa_kernel _ZL19rocblas_syr2_kernelILi128ELi8ELi2EfPKPKfPKPfEvbiT2_T3_lllS8_lllT4_llli
		.amdhsa_group_segment_fixed_size 0
		.amdhsa_private_segment_fixed_size 0
		.amdhsa_kernarg_size 376
		.amdhsa_user_sgpr_count 2
		.amdhsa_user_sgpr_dispatch_ptr 0
		.amdhsa_user_sgpr_queue_ptr 0
		.amdhsa_user_sgpr_kernarg_segment_ptr 1
		.amdhsa_user_sgpr_dispatch_id 0
		.amdhsa_user_sgpr_kernarg_preload_length 0
		.amdhsa_user_sgpr_kernarg_preload_offset 0
		.amdhsa_user_sgpr_private_segment_size 0
		.amdhsa_wavefront_size32 1
		.amdhsa_uses_dynamic_stack 0
		.amdhsa_enable_private_segment 0
		.amdhsa_system_sgpr_workgroup_id_x 1
		.amdhsa_system_sgpr_workgroup_id_y 1
		.amdhsa_system_sgpr_workgroup_id_z 1
		.amdhsa_system_sgpr_workgroup_info 0
		.amdhsa_system_vgpr_workitem_id 1
		.amdhsa_next_free_vgpr 31
		.amdhsa_next_free_sgpr 30
		.amdhsa_named_barrier_count 0
		.amdhsa_reserve_vcc 1
		.amdhsa_float_round_mode_32 0
		.amdhsa_float_round_mode_16_64 0
		.amdhsa_float_denorm_mode_32 3
		.amdhsa_float_denorm_mode_16_64 3
		.amdhsa_fp16_overflow 0
		.amdhsa_memory_ordered 1
		.amdhsa_forward_progress 1
		.amdhsa_inst_pref_size 8
		.amdhsa_round_robin_scheduling 0
		.amdhsa_exception_fp_ieee_invalid_op 0
		.amdhsa_exception_fp_denorm_src 0
		.amdhsa_exception_fp_ieee_div_zero 0
		.amdhsa_exception_fp_ieee_overflow 0
		.amdhsa_exception_fp_ieee_underflow 0
		.amdhsa_exception_fp_ieee_inexact 0
		.amdhsa_exception_int_div_zero 0
	.end_amdhsa_kernel
	.section	.text._ZL19rocblas_syr2_kernelILi128ELi8ELi2EfPKPKfPKPfEvbiT2_T3_lllS8_lllT4_llli,"axG",@progbits,_ZL19rocblas_syr2_kernelILi128ELi8ELi2EfPKPKfPKPfEvbiT2_T3_lllS8_lllT4_llli,comdat
.Lfunc_end9:
	.size	_ZL19rocblas_syr2_kernelILi128ELi8ELi2EfPKPKfPKPfEvbiT2_T3_lllS8_lllT4_llli, .Lfunc_end9-_ZL19rocblas_syr2_kernelILi128ELi8ELi2EfPKPKfPKPfEvbiT2_T3_lllS8_lllT4_llli
                                        ; -- End function
	.set _ZL19rocblas_syr2_kernelILi128ELi8ELi2EfPKPKfPKPfEvbiT2_T3_lllS8_lllT4_llli.num_vgpr, 31
	.set _ZL19rocblas_syr2_kernelILi128ELi8ELi2EfPKPKfPKPfEvbiT2_T3_lllS8_lllT4_llli.num_agpr, 0
	.set _ZL19rocblas_syr2_kernelILi128ELi8ELi2EfPKPKfPKPfEvbiT2_T3_lllS8_lllT4_llli.numbered_sgpr, 30
	.set _ZL19rocblas_syr2_kernelILi128ELi8ELi2EfPKPKfPKPfEvbiT2_T3_lllS8_lllT4_llli.num_named_barrier, 0
	.set _ZL19rocblas_syr2_kernelILi128ELi8ELi2EfPKPKfPKPfEvbiT2_T3_lllS8_lllT4_llli.private_seg_size, 0
	.set _ZL19rocblas_syr2_kernelILi128ELi8ELi2EfPKPKfPKPfEvbiT2_T3_lllS8_lllT4_llli.uses_vcc, 1
	.set _ZL19rocblas_syr2_kernelILi128ELi8ELi2EfPKPKfPKPfEvbiT2_T3_lllS8_lllT4_llli.uses_flat_scratch, 1
	.set _ZL19rocblas_syr2_kernelILi128ELi8ELi2EfPKPKfPKPfEvbiT2_T3_lllS8_lllT4_llli.has_dyn_sized_stack, 0
	.set _ZL19rocblas_syr2_kernelILi128ELi8ELi2EfPKPKfPKPfEvbiT2_T3_lllS8_lllT4_llli.has_recursion, 0
	.set _ZL19rocblas_syr2_kernelILi128ELi8ELi2EfPKPKfPKPfEvbiT2_T3_lllS8_lllT4_llli.has_indirect_call, 0
	.section	.AMDGPU.csdata,"",@progbits
; Kernel info:
; codeLenInByte = 1008
; TotalNumSgprs: 32
; NumVgprs: 31
; ScratchSize: 0
; MemoryBound: 0
; FloatMode: 240
; IeeeMode: 1
; LDSByteSize: 0 bytes/workgroup (compile time only)
; SGPRBlocks: 0
; VGPRBlocks: 1
; NumSGPRsForWavesPerEU: 32
; NumVGPRsForWavesPerEU: 31
; NamedBarCnt: 0
; Occupancy: 16
; WaveLimiterHint : 1
; COMPUTE_PGM_RSRC2:SCRATCH_EN: 0
; COMPUTE_PGM_RSRC2:USER_SGPR: 2
; COMPUTE_PGM_RSRC2:TRAP_HANDLER: 0
; COMPUTE_PGM_RSRC2:TGID_X_EN: 1
; COMPUTE_PGM_RSRC2:TGID_Y_EN: 1
; COMPUTE_PGM_RSRC2:TGID_Z_EN: 1
; COMPUTE_PGM_RSRC2:TIDIG_COMP_CNT: 1
	.section	.text._ZL19rocblas_syr2_kernelILi128ELi8ELi1EPKdPKS1_PKPdEvbiT2_T3_lllS8_lllT4_llli,"axG",@progbits,_ZL19rocblas_syr2_kernelILi128ELi8ELi1EPKdPKS1_PKPdEvbiT2_T3_lllS8_lllT4_llli,comdat
	.globl	_ZL19rocblas_syr2_kernelILi128ELi8ELi1EPKdPKS1_PKPdEvbiT2_T3_lllS8_lllT4_llli ; -- Begin function _ZL19rocblas_syr2_kernelILi128ELi8ELi1EPKdPKS1_PKPdEvbiT2_T3_lllS8_lllT4_llli
	.p2align	8
	.type	_ZL19rocblas_syr2_kernelILi128ELi8ELi1EPKdPKS1_PKPdEvbiT2_T3_lllS8_lllT4_llli,@function
_ZL19rocblas_syr2_kernelILi128ELi8ELi1EPKdPKS1_PKPdEvbiT2_T3_lllS8_lllT4_llli: ; @_ZL19rocblas_syr2_kernelILi128ELi8ELi1EPKdPKS1_PKPdEvbiT2_T3_lllS8_lllT4_llli
; %bb.0:
	s_load_b64 s[2:3], s[0:1], 0x84
	s_wait_kmcnt 0x0
	s_lshr_b32 s4, s2, 16
	s_and_b32 s2, s2, 0xffff
	s_and_b32 s3, s3, 0xffff
	s_mul_i32 s2, s4, s2
	s_delay_alu instid0(SALU_CYCLE_1) | instskip(NEXT) | instid1(SALU_CYCLE_1)
	s_mul_i32 s2, s2, s3
	s_cmp_lg_u32 s2, 0x400
	s_cbranch_scc1 .LBB10_10
; %bb.1:
	s_clause 0x1
	s_load_b256 s[4:11], s[0:1], 0x8
	s_load_b32 s20, s[0:1], 0x70
	s_bfe_u32 s2, ttmp6, 0x40014
	s_lshr_b32 s12, ttmp7, 16
	s_add_co_i32 s2, s2, 1
	s_bfe_u32 s14, ttmp6, 0x40008
	s_mul_i32 s13, s12, s2
	s_getreg_b32 s2, hwreg(HW_REG_IB_STS2, 6, 4)
	s_add_co_i32 s14, s14, s13
	s_cmp_eq_u32 s2, 0
	s_cselect_b32 s21, s12, s14
	s_wait_kmcnt 0x0
	s_load_b64 s[4:5], s[4:5], 0x0
	s_cmp_ge_u32 s21, s20
	s_cselect_b32 s12, -1, 0
	s_wait_kmcnt 0x0
	v_cmp_eq_f64_e64 s3, s[4:5], 0
	s_or_b32 s3, s3, s12
	s_delay_alu instid0(SALU_CYCLE_1)
	s_and_b32 vcc_lo, exec_lo, s3
	s_cbranch_vccnz .LBB10_10
; %bb.2:
	s_clause 0x3
	s_load_b64 s[22:23], s[0:1], 0x0
	s_load_b128 s[12:15], s[0:1], 0x30
	s_load_b64 s[24:25], s[0:1], 0x40
	s_load_b128 s[16:19], s[0:1], 0x50
	v_bfe_u32 v1, v0, 10, 10
	v_and_b32_e32 v0, 0x3ff, v0
	s_wait_kmcnt 0x0
	s_bitcmp1_b32 s22, 0
	s_cselect_b32 s3, -1, 0
	s_bfe_u32 s27, ttmp6, 0x40010
	s_bfe_u32 s30, ttmp6, 0x4000c
	s_and_b32 s26, ttmp7, 0xffff
	s_add_co_i32 s27, s27, 1
	s_add_co_i32 s30, s30, 1
	s_bfe_u32 s28, ttmp6, 0x40004
	s_and_b32 s29, ttmp6, 15
	s_xor_b32 s22, s3, -1
	s_mul_i32 s3, s26, s27
	s_mul_i32 s27, ttmp9, s30
	s_add_co_i32 s28, s28, s3
	s_add_co_i32 s29, s29, s27
	s_cmp_eq_u32 s2, 0
	s_cselect_b32 s2, s26, s28
	s_delay_alu instid0(SALU_CYCLE_1) | instskip(SKIP_1) | instid1(SALU_CYCLE_1)
	v_lshl_add_u32 v12, s2, 3, v1
	s_cselect_b32 s2, ttmp9, s29
	v_lshl_add_u32 v0, s2, 7, v0
	s_delay_alu instid0(VALU_DEP_2) | instskip(NEXT) | instid1(VALU_DEP_2)
	v_ashrrev_i32_e32 v13, 31, v12
	v_ashrrev_i32_e32 v1, 31, v0
	v_cmp_gt_i32_e32 vcc_lo, s23, v0
	s_delay_alu instid0(VALU_DEP_3)
	v_mul_u64_e32 v[2:3], s[24:25], v[12:13]
	v_mul_u64_e32 v[4:5], s[10:11], v[12:13]
	;; [unrolled: 1-line block ×5, first 2 shown]
	s_load_b64 s[18:19], s[0:1], 0x60
	s_wait_xcnt 0x0
	v_cmp_le_i32_e64 s0, v12, v0
	v_cmp_gt_i32_e64 s1, s23, v12
	v_cmp_le_i32_e64 s2, v0, v12
	s_and_b32 s10, s0, vcc_lo
	s_and_b32 s11, s2, s1
	s_lshl_b64 s[2:3], s[8:9], 3
	s_lshl_b64 s[8:9], s[14:15], 3
	s_wait_kmcnt 0x0
	s_lshl_b64 s[0:1], s[18:19], 3
	s_branch .LBB10_4
.LBB10_3:                               ;   in Loop: Header=BB10_4 Depth=1
	s_wait_xcnt 0x0
	s_or_b32 exec_lo, exec_lo, s14
	s_add_co_i32 s21, s21, 0x10000
	s_delay_alu instid0(SALU_CYCLE_1)
	s_cmp_lt_u32 s21, s20
	s_cbranch_scc0 .LBB10_10
.LBB10_4:                               ; =>This Inner Loop Header: Depth=1
	s_mov_b32 s15, 0
	s_and_b32 vcc_lo, exec_lo, s22
	s_mov_b32 s14, -1
	s_cbranch_vccnz .LBB10_7
; %bb.5:                                ;   in Loop: Header=BB10_4 Depth=1
	s_and_not1_b32 vcc_lo, exec_lo, s14
	s_cbranch_vccz .LBB10_8
.LBB10_6:                               ;   in Loop: Header=BB10_4 Depth=1
	s_and_saveexec_b32 s14, s15
	s_cbranch_execz .LBB10_3
	s_branch .LBB10_9
.LBB10_7:                               ;   in Loop: Header=BB10_4 Depth=1
	s_and_b32 s15, s10, exec_lo
	s_cbranch_execnz .LBB10_6
.LBB10_8:                               ;   in Loop: Header=BB10_4 Depth=1
	s_and_not1_b32 s14, s15, exec_lo
	s_and_b32 s15, s11, exec_lo
	s_delay_alu instid0(SALU_CYCLE_1) | instskip(NEXT) | instid1(SALU_CYCLE_1)
	s_or_b32 s15, s14, s15
	s_and_saveexec_b32 s14, s15
	s_cbranch_execz .LBB10_3
.LBB10_9:                               ;   in Loop: Header=BB10_4 Depth=1
	s_load_b64 s[18:19], s[12:13], s21 offset:0x0 scale_offset
	s_load_b64 s[24:25], s[6:7], s21 offset:0x0 scale_offset
	s_wait_kmcnt 0x0
	s_add_nc_u64 s[18:19], s[18:19], s[8:9]
	s_add_nc_u64 s[24:25], s[24:25], s[2:3]
	v_lshl_add_u64 v[12:13], v[10:11], 3, s[18:19]
	v_lshl_add_u64 v[14:15], v[8:9], 3, s[24:25]
	;; [unrolled: 1-line block ×3, first 2 shown]
	flat_load_b64 v[12:13], v[12:13]
	s_clause 0x1
	flat_load_b64 v[18:19], v[14:15]
	flat_load_b64 v[20:21], v[16:17]
	s_wait_xcnt 0x1
	v_lshl_add_u64 v[14:15], v[2:3], 3, s[18:19]
	s_load_b64 s[18:19], s[16:17], s21 offset:0x0 scale_offset
	flat_load_b64 v[14:15], v[14:15]
	s_wait_kmcnt 0x0
	s_add_nc_u64 s[18:19], s[18:19], s[0:1]
	s_delay_alu instid0(SALU_CYCLE_1) | instskip(NEXT) | instid1(VALU_DEP_1)
	v_lshl_add_u64 v[16:17], v[6:7], 3, s[18:19]
	v_lshl_add_u64 v[16:17], v[0:1], 3, v[16:17]
	flat_load_b64 v[22:23], v[16:17]
	s_wait_loadcnt_dscnt 0x303
	v_mul_f64_e32 v[18:19], s[4:5], v[18:19]
	v_mul_f64_e32 v[12:13], s[4:5], v[12:13]
	s_wait_loadcnt_dscnt 0x202
	s_delay_alu instid0(VALU_DEP_1) | instskip(SKIP_1) | instid1(VALU_DEP_1)
	v_mul_f64_e32 v[12:13], v[12:13], v[20:21]
	s_wait_loadcnt_dscnt 0x101
	v_fmac_f64_e32 v[12:13], v[18:19], v[14:15]
	s_wait_loadcnt_dscnt 0x0
	s_delay_alu instid0(VALU_DEP_1)
	v_add_f64_e32 v[12:13], v[22:23], v[12:13]
	flat_store_b64 v[16:17], v[12:13]
	s_branch .LBB10_3
.LBB10_10:
	s_endpgm
	.section	.rodata,"a",@progbits
	.p2align	6, 0x0
	.amdhsa_kernel _ZL19rocblas_syr2_kernelILi128ELi8ELi1EPKdPKS1_PKPdEvbiT2_T3_lllS8_lllT4_llli
		.amdhsa_group_segment_fixed_size 0
		.amdhsa_private_segment_fixed_size 0
		.amdhsa_kernarg_size 376
		.amdhsa_user_sgpr_count 2
		.amdhsa_user_sgpr_dispatch_ptr 0
		.amdhsa_user_sgpr_queue_ptr 0
		.amdhsa_user_sgpr_kernarg_segment_ptr 1
		.amdhsa_user_sgpr_dispatch_id 0
		.amdhsa_user_sgpr_kernarg_preload_length 0
		.amdhsa_user_sgpr_kernarg_preload_offset 0
		.amdhsa_user_sgpr_private_segment_size 0
		.amdhsa_wavefront_size32 1
		.amdhsa_uses_dynamic_stack 0
		.amdhsa_enable_private_segment 0
		.amdhsa_system_sgpr_workgroup_id_x 1
		.amdhsa_system_sgpr_workgroup_id_y 1
		.amdhsa_system_sgpr_workgroup_id_z 1
		.amdhsa_system_sgpr_workgroup_info 0
		.amdhsa_system_vgpr_workitem_id 1
		.amdhsa_next_free_vgpr 24
		.amdhsa_next_free_sgpr 31
		.amdhsa_named_barrier_count 0
		.amdhsa_reserve_vcc 1
		.amdhsa_float_round_mode_32 0
		.amdhsa_float_round_mode_16_64 0
		.amdhsa_float_denorm_mode_32 3
		.amdhsa_float_denorm_mode_16_64 3
		.amdhsa_fp16_overflow 0
		.amdhsa_memory_ordered 1
		.amdhsa_forward_progress 1
		.amdhsa_inst_pref_size 6
		.amdhsa_round_robin_scheduling 0
		.amdhsa_exception_fp_ieee_invalid_op 0
		.amdhsa_exception_fp_denorm_src 0
		.amdhsa_exception_fp_ieee_div_zero 0
		.amdhsa_exception_fp_ieee_overflow 0
		.amdhsa_exception_fp_ieee_underflow 0
		.amdhsa_exception_fp_ieee_inexact 0
		.amdhsa_exception_int_div_zero 0
	.end_amdhsa_kernel
	.section	.text._ZL19rocblas_syr2_kernelILi128ELi8ELi1EPKdPKS1_PKPdEvbiT2_T3_lllS8_lllT4_llli,"axG",@progbits,_ZL19rocblas_syr2_kernelILi128ELi8ELi1EPKdPKS1_PKPdEvbiT2_T3_lllS8_lllT4_llli,comdat
.Lfunc_end10:
	.size	_ZL19rocblas_syr2_kernelILi128ELi8ELi1EPKdPKS1_PKPdEvbiT2_T3_lllS8_lllT4_llli, .Lfunc_end10-_ZL19rocblas_syr2_kernelILi128ELi8ELi1EPKdPKS1_PKPdEvbiT2_T3_lllS8_lllT4_llli
                                        ; -- End function
	.set _ZL19rocblas_syr2_kernelILi128ELi8ELi1EPKdPKS1_PKPdEvbiT2_T3_lllS8_lllT4_llli.num_vgpr, 24
	.set _ZL19rocblas_syr2_kernelILi128ELi8ELi1EPKdPKS1_PKPdEvbiT2_T3_lllS8_lllT4_llli.num_agpr, 0
	.set _ZL19rocblas_syr2_kernelILi128ELi8ELi1EPKdPKS1_PKPdEvbiT2_T3_lllS8_lllT4_llli.numbered_sgpr, 31
	.set _ZL19rocblas_syr2_kernelILi128ELi8ELi1EPKdPKS1_PKPdEvbiT2_T3_lllS8_lllT4_llli.num_named_barrier, 0
	.set _ZL19rocblas_syr2_kernelILi128ELi8ELi1EPKdPKS1_PKPdEvbiT2_T3_lllS8_lllT4_llli.private_seg_size, 0
	.set _ZL19rocblas_syr2_kernelILi128ELi8ELi1EPKdPKS1_PKPdEvbiT2_T3_lllS8_lllT4_llli.uses_vcc, 1
	.set _ZL19rocblas_syr2_kernelILi128ELi8ELi1EPKdPKS1_PKPdEvbiT2_T3_lllS8_lllT4_llli.uses_flat_scratch, 1
	.set _ZL19rocblas_syr2_kernelILi128ELi8ELi1EPKdPKS1_PKPdEvbiT2_T3_lllS8_lllT4_llli.has_dyn_sized_stack, 0
	.set _ZL19rocblas_syr2_kernelILi128ELi8ELi1EPKdPKS1_PKPdEvbiT2_T3_lllS8_lllT4_llli.has_recursion, 0
	.set _ZL19rocblas_syr2_kernelILi128ELi8ELi1EPKdPKS1_PKPdEvbiT2_T3_lllS8_lllT4_llli.has_indirect_call, 0
	.section	.AMDGPU.csdata,"",@progbits
; Kernel info:
; codeLenInByte = 756
; TotalNumSgprs: 33
; NumVgprs: 24
; ScratchSize: 0
; MemoryBound: 0
; FloatMode: 240
; IeeeMode: 1
; LDSByteSize: 0 bytes/workgroup (compile time only)
; SGPRBlocks: 0
; VGPRBlocks: 1
; NumSGPRsForWavesPerEU: 33
; NumVGPRsForWavesPerEU: 24
; NamedBarCnt: 0
; Occupancy: 16
; WaveLimiterHint : 1
; COMPUTE_PGM_RSRC2:SCRATCH_EN: 0
; COMPUTE_PGM_RSRC2:USER_SGPR: 2
; COMPUTE_PGM_RSRC2:TRAP_HANDLER: 0
; COMPUTE_PGM_RSRC2:TGID_X_EN: 1
; COMPUTE_PGM_RSRC2:TGID_Y_EN: 1
; COMPUTE_PGM_RSRC2:TGID_Z_EN: 1
; COMPUTE_PGM_RSRC2:TIDIG_COMP_CNT: 1
	.section	.text._ZL19rocblas_syr2_kernelILi128ELi8ELi1EdPKPKdPKPdEvbiT2_T3_lllS8_lllT4_llli,"axG",@progbits,_ZL19rocblas_syr2_kernelILi128ELi8ELi1EdPKPKdPKPdEvbiT2_T3_lllS8_lllT4_llli,comdat
	.globl	_ZL19rocblas_syr2_kernelILi128ELi8ELi1EdPKPKdPKPdEvbiT2_T3_lllS8_lllT4_llli ; -- Begin function _ZL19rocblas_syr2_kernelILi128ELi8ELi1EdPKPKdPKPdEvbiT2_T3_lllS8_lllT4_llli
	.p2align	8
	.type	_ZL19rocblas_syr2_kernelILi128ELi8ELi1EdPKPKdPKPdEvbiT2_T3_lllS8_lllT4_llli,@function
_ZL19rocblas_syr2_kernelILi128ELi8ELi1EdPKPKdPKPdEvbiT2_T3_lllS8_lllT4_llli: ; @_ZL19rocblas_syr2_kernelILi128ELi8ELi1EdPKPKdPKPdEvbiT2_T3_lllS8_lllT4_llli
; %bb.0:
	s_clause 0x2
	s_load_b256 s[4:11], s[0:1], 0x8
	s_load_b64 s[2:3], s[0:1], 0x84
	s_load_b32 s20, s[0:1], 0x70
	s_bfe_u32 s14, ttmp6, 0x40014
	s_lshr_b32 s15, ttmp7, 16
	s_add_co_i32 s14, s14, 1
	s_bfe_u32 s16, ttmp6, 0x40008
	s_mul_i32 s14, s15, s14
	s_delay_alu instid0(SALU_CYCLE_1)
	s_add_co_i32 s16, s16, s14
	s_wait_kmcnt 0x0
	v_cmp_eq_f64_e64 s12, s[4:5], 0
	s_lshr_b32 s13, s2, 16
	s_and_b32 s2, s2, 0xffff
	s_and_b32 s3, s3, 0xffff
	s_mul_i32 s13, s13, s2
	s_getreg_b32 s2, hwreg(HW_REG_IB_STS2, 6, 4)
	s_mul_i32 s13, s13, s3
	s_cmp_eq_u32 s2, 0
	s_cselect_b32 s21, s15, s16
	s_cmp_lg_u32 s13, 0x400
	s_cselect_b32 s3, -1, 0
	s_delay_alu instid0(SALU_CYCLE_1) | instskip(SKIP_2) | instid1(SALU_CYCLE_1)
	s_or_b32 s3, s12, s3
	s_cmp_ge_u32 s21, s20
	s_cselect_b32 s12, -1, 0
	s_or_b32 s3, s3, s12
	s_delay_alu instid0(SALU_CYCLE_1)
	s_and_b32 vcc_lo, exec_lo, s3
	s_cbranch_vccnz .LBB11_9
; %bb.1:
	s_clause 0x3
	s_load_b64 s[22:23], s[0:1], 0x0
	s_load_b128 s[12:15], s[0:1], 0x30
	s_load_b64 s[24:25], s[0:1], 0x40
	s_load_b128 s[16:19], s[0:1], 0x50
	v_bfe_u32 v1, v0, 10, 10
	v_and_b32_e32 v0, 0x3ff, v0
	s_wait_kmcnt 0x0
	s_bitcmp1_b32 s22, 0
	s_cselect_b32 s3, -1, 0
	s_bfe_u32 s27, ttmp6, 0x40010
	s_bfe_u32 s30, ttmp6, 0x4000c
	s_and_b32 s26, ttmp7, 0xffff
	s_add_co_i32 s27, s27, 1
	s_add_co_i32 s30, s30, 1
	s_bfe_u32 s28, ttmp6, 0x40004
	s_and_b32 s29, ttmp6, 15
	s_xor_b32 s22, s3, -1
	s_mul_i32 s3, s26, s27
	s_mul_i32 s27, ttmp9, s30
	s_add_co_i32 s28, s28, s3
	s_add_co_i32 s29, s29, s27
	s_cmp_eq_u32 s2, 0
	s_cselect_b32 s2, s26, s28
	s_delay_alu instid0(SALU_CYCLE_1) | instskip(SKIP_1) | instid1(SALU_CYCLE_1)
	v_lshl_add_u32 v12, s2, 3, v1
	s_cselect_b32 s2, ttmp9, s29
	v_lshl_add_u32 v0, s2, 7, v0
	s_delay_alu instid0(VALU_DEP_2) | instskip(NEXT) | instid1(VALU_DEP_2)
	v_ashrrev_i32_e32 v13, 31, v12
	v_ashrrev_i32_e32 v1, 31, v0
	v_cmp_gt_i32_e32 vcc_lo, s23, v0
	s_delay_alu instid0(VALU_DEP_3)
	v_mul_u64_e32 v[2:3], s[24:25], v[12:13]
	v_mul_u64_e32 v[4:5], s[10:11], v[12:13]
	;; [unrolled: 1-line block ×5, first 2 shown]
	s_load_b64 s[18:19], s[0:1], 0x60
	s_wait_xcnt 0x0
	v_cmp_le_i32_e64 s0, v12, v0
	v_cmp_gt_i32_e64 s1, s23, v12
	v_cmp_le_i32_e64 s2, v0, v12
	s_and_b32 s10, s0, vcc_lo
	s_and_b32 s11, s2, s1
	s_lshl_b64 s[2:3], s[8:9], 3
	s_lshl_b64 s[8:9], s[14:15], 3
	s_wait_kmcnt 0x0
	s_lshl_b64 s[0:1], s[18:19], 3
	s_branch .LBB11_3
.LBB11_2:                               ;   in Loop: Header=BB11_3 Depth=1
	s_wait_xcnt 0x0
	s_or_b32 exec_lo, exec_lo, s14
	s_add_co_i32 s21, s21, 0x10000
	s_delay_alu instid0(SALU_CYCLE_1)
	s_cmp_lt_u32 s21, s20
	s_cbranch_scc0 .LBB11_9
.LBB11_3:                               ; =>This Inner Loop Header: Depth=1
	s_mov_b32 s15, 0
	s_and_b32 vcc_lo, exec_lo, s22
	s_mov_b32 s14, -1
	s_cbranch_vccnz .LBB11_6
; %bb.4:                                ;   in Loop: Header=BB11_3 Depth=1
	s_and_not1_b32 vcc_lo, exec_lo, s14
	s_cbranch_vccz .LBB11_7
.LBB11_5:                               ;   in Loop: Header=BB11_3 Depth=1
	s_and_saveexec_b32 s14, s15
	s_cbranch_execz .LBB11_2
	s_branch .LBB11_8
.LBB11_6:                               ;   in Loop: Header=BB11_3 Depth=1
	s_and_b32 s15, s10, exec_lo
	s_cbranch_execnz .LBB11_5
.LBB11_7:                               ;   in Loop: Header=BB11_3 Depth=1
	s_and_not1_b32 s14, s15, exec_lo
	s_and_b32 s15, s11, exec_lo
	s_delay_alu instid0(SALU_CYCLE_1) | instskip(NEXT) | instid1(SALU_CYCLE_1)
	s_or_b32 s15, s14, s15
	s_and_saveexec_b32 s14, s15
	s_cbranch_execz .LBB11_2
.LBB11_8:                               ;   in Loop: Header=BB11_3 Depth=1
	s_load_b64 s[18:19], s[12:13], s21 offset:0x0 scale_offset
	s_load_b64 s[24:25], s[6:7], s21 offset:0x0 scale_offset
	s_wait_kmcnt 0x0
	s_add_nc_u64 s[18:19], s[18:19], s[8:9]
	s_add_nc_u64 s[24:25], s[24:25], s[2:3]
	v_lshl_add_u64 v[12:13], v[10:11], 3, s[18:19]
	v_lshl_add_u64 v[14:15], v[8:9], 3, s[24:25]
	;; [unrolled: 1-line block ×3, first 2 shown]
	flat_load_b64 v[12:13], v[12:13]
	s_clause 0x1
	flat_load_b64 v[18:19], v[14:15]
	flat_load_b64 v[20:21], v[16:17]
	s_wait_xcnt 0x1
	v_lshl_add_u64 v[14:15], v[2:3], 3, s[18:19]
	s_load_b64 s[18:19], s[16:17], s21 offset:0x0 scale_offset
	flat_load_b64 v[14:15], v[14:15]
	s_wait_kmcnt 0x0
	s_add_nc_u64 s[18:19], s[18:19], s[0:1]
	s_delay_alu instid0(SALU_CYCLE_1) | instskip(NEXT) | instid1(VALU_DEP_1)
	v_lshl_add_u64 v[16:17], v[6:7], 3, s[18:19]
	v_lshl_add_u64 v[16:17], v[0:1], 3, v[16:17]
	flat_load_b64 v[22:23], v[16:17]
	s_wait_loadcnt_dscnt 0x303
	v_mul_f64_e32 v[18:19], s[4:5], v[18:19]
	v_mul_f64_e32 v[12:13], s[4:5], v[12:13]
	s_wait_loadcnt_dscnt 0x202
	s_delay_alu instid0(VALU_DEP_1) | instskip(SKIP_1) | instid1(VALU_DEP_1)
	v_mul_f64_e32 v[12:13], v[12:13], v[20:21]
	s_wait_loadcnt_dscnt 0x101
	v_fmac_f64_e32 v[12:13], v[18:19], v[14:15]
	s_wait_loadcnt_dscnt 0x0
	s_delay_alu instid0(VALU_DEP_1)
	v_add_f64_e32 v[12:13], v[22:23], v[12:13]
	flat_store_b64 v[16:17], v[12:13]
	s_branch .LBB11_2
.LBB11_9:
	s_endpgm
	.section	.rodata,"a",@progbits
	.p2align	6, 0x0
	.amdhsa_kernel _ZL19rocblas_syr2_kernelILi128ELi8ELi1EdPKPKdPKPdEvbiT2_T3_lllS8_lllT4_llli
		.amdhsa_group_segment_fixed_size 0
		.amdhsa_private_segment_fixed_size 0
		.amdhsa_kernarg_size 376
		.amdhsa_user_sgpr_count 2
		.amdhsa_user_sgpr_dispatch_ptr 0
		.amdhsa_user_sgpr_queue_ptr 0
		.amdhsa_user_sgpr_kernarg_segment_ptr 1
		.amdhsa_user_sgpr_dispatch_id 0
		.amdhsa_user_sgpr_kernarg_preload_length 0
		.amdhsa_user_sgpr_kernarg_preload_offset 0
		.amdhsa_user_sgpr_private_segment_size 0
		.amdhsa_wavefront_size32 1
		.amdhsa_uses_dynamic_stack 0
		.amdhsa_enable_private_segment 0
		.amdhsa_system_sgpr_workgroup_id_x 1
		.amdhsa_system_sgpr_workgroup_id_y 1
		.amdhsa_system_sgpr_workgroup_id_z 1
		.amdhsa_system_sgpr_workgroup_info 0
		.amdhsa_system_vgpr_workitem_id 1
		.amdhsa_next_free_vgpr 24
		.amdhsa_next_free_sgpr 31
		.amdhsa_named_barrier_count 0
		.amdhsa_reserve_vcc 1
		.amdhsa_float_round_mode_32 0
		.amdhsa_float_round_mode_16_64 0
		.amdhsa_float_denorm_mode_32 3
		.amdhsa_float_denorm_mode_16_64 3
		.amdhsa_fp16_overflow 0
		.amdhsa_memory_ordered 1
		.amdhsa_forward_progress 1
		.amdhsa_inst_pref_size 6
		.amdhsa_round_robin_scheduling 0
		.amdhsa_exception_fp_ieee_invalid_op 0
		.amdhsa_exception_fp_denorm_src 0
		.amdhsa_exception_fp_ieee_div_zero 0
		.amdhsa_exception_fp_ieee_overflow 0
		.amdhsa_exception_fp_ieee_underflow 0
		.amdhsa_exception_fp_ieee_inexact 0
		.amdhsa_exception_int_div_zero 0
	.end_amdhsa_kernel
	.section	.text._ZL19rocblas_syr2_kernelILi128ELi8ELi1EdPKPKdPKPdEvbiT2_T3_lllS8_lllT4_llli,"axG",@progbits,_ZL19rocblas_syr2_kernelILi128ELi8ELi1EdPKPKdPKPdEvbiT2_T3_lllS8_lllT4_llli,comdat
.Lfunc_end11:
	.size	_ZL19rocblas_syr2_kernelILi128ELi8ELi1EdPKPKdPKPdEvbiT2_T3_lllS8_lllT4_llli, .Lfunc_end11-_ZL19rocblas_syr2_kernelILi128ELi8ELi1EdPKPKdPKPdEvbiT2_T3_lllS8_lllT4_llli
                                        ; -- End function
	.set _ZL19rocblas_syr2_kernelILi128ELi8ELi1EdPKPKdPKPdEvbiT2_T3_lllS8_lllT4_llli.num_vgpr, 24
	.set _ZL19rocblas_syr2_kernelILi128ELi8ELi1EdPKPKdPKPdEvbiT2_T3_lllS8_lllT4_llli.num_agpr, 0
	.set _ZL19rocblas_syr2_kernelILi128ELi8ELi1EdPKPKdPKPdEvbiT2_T3_lllS8_lllT4_llli.numbered_sgpr, 31
	.set _ZL19rocblas_syr2_kernelILi128ELi8ELi1EdPKPKdPKPdEvbiT2_T3_lllS8_lllT4_llli.num_named_barrier, 0
	.set _ZL19rocblas_syr2_kernelILi128ELi8ELi1EdPKPKdPKPdEvbiT2_T3_lllS8_lllT4_llli.private_seg_size, 0
	.set _ZL19rocblas_syr2_kernelILi128ELi8ELi1EdPKPKdPKPdEvbiT2_T3_lllS8_lllT4_llli.uses_vcc, 1
	.set _ZL19rocblas_syr2_kernelILi128ELi8ELi1EdPKPKdPKPdEvbiT2_T3_lllS8_lllT4_llli.uses_flat_scratch, 1
	.set _ZL19rocblas_syr2_kernelILi128ELi8ELi1EdPKPKdPKPdEvbiT2_T3_lllS8_lllT4_llli.has_dyn_sized_stack, 0
	.set _ZL19rocblas_syr2_kernelILi128ELi8ELi1EdPKPKdPKPdEvbiT2_T3_lllS8_lllT4_llli.has_recursion, 0
	.set _ZL19rocblas_syr2_kernelILi128ELi8ELi1EdPKPKdPKPdEvbiT2_T3_lllS8_lllT4_llli.has_indirect_call, 0
	.section	.AMDGPU.csdata,"",@progbits
; Kernel info:
; codeLenInByte = 748
; TotalNumSgprs: 33
; NumVgprs: 24
; ScratchSize: 0
; MemoryBound: 0
; FloatMode: 240
; IeeeMode: 1
; LDSByteSize: 0 bytes/workgroup (compile time only)
; SGPRBlocks: 0
; VGPRBlocks: 1
; NumSGPRsForWavesPerEU: 33
; NumVGPRsForWavesPerEU: 24
; NamedBarCnt: 0
; Occupancy: 16
; WaveLimiterHint : 1
; COMPUTE_PGM_RSRC2:SCRATCH_EN: 0
; COMPUTE_PGM_RSRC2:USER_SGPR: 2
; COMPUTE_PGM_RSRC2:TRAP_HANDLER: 0
; COMPUTE_PGM_RSRC2:TGID_X_EN: 1
; COMPUTE_PGM_RSRC2:TGID_Y_EN: 1
; COMPUTE_PGM_RSRC2:TGID_Z_EN: 1
; COMPUTE_PGM_RSRC2:TIDIG_COMP_CNT: 1
	.section	.text._ZL19rocblas_syr2_kernelILi128ELi8ELi1EPK19rocblas_complex_numIfEPKS3_PKPS1_EvbiT2_T3_lllSA_lllT4_llli,"axG",@progbits,_ZL19rocblas_syr2_kernelILi128ELi8ELi1EPK19rocblas_complex_numIfEPKS3_PKPS1_EvbiT2_T3_lllSA_lllT4_llli,comdat
	.globl	_ZL19rocblas_syr2_kernelILi128ELi8ELi1EPK19rocblas_complex_numIfEPKS3_PKPS1_EvbiT2_T3_lllSA_lllT4_llli ; -- Begin function _ZL19rocblas_syr2_kernelILi128ELi8ELi1EPK19rocblas_complex_numIfEPKS3_PKPS1_EvbiT2_T3_lllSA_lllT4_llli
	.p2align	8
	.type	_ZL19rocblas_syr2_kernelILi128ELi8ELi1EPK19rocblas_complex_numIfEPKS3_PKPS1_EvbiT2_T3_lllSA_lllT4_llli,@function
_ZL19rocblas_syr2_kernelILi128ELi8ELi1EPK19rocblas_complex_numIfEPKS3_PKPS1_EvbiT2_T3_lllSA_lllT4_llli: ; @_ZL19rocblas_syr2_kernelILi128ELi8ELi1EPK19rocblas_complex_numIfEPKS3_PKPS1_EvbiT2_T3_lllSA_lllT4_llli
; %bb.0:
	s_load_b64 s[2:3], s[0:1], 0x84
	s_wait_kmcnt 0x0
	s_lshr_b32 s4, s2, 16
	s_and_b32 s2, s2, 0xffff
	s_and_b32 s3, s3, 0xffff
	s_mul_i32 s2, s4, s2
	s_delay_alu instid0(SALU_CYCLE_1) | instskip(NEXT) | instid1(SALU_CYCLE_1)
	s_mul_i32 s2, s2, s3
	s_cmp_lg_u32 s2, 0x400
	s_cbranch_scc1 .LBB12_10
; %bb.1:
	s_load_b256 s[4:11], s[0:1], 0x8
	s_bfe_u32 s2, ttmp6, 0x40014
	s_lshr_b32 s3, ttmp7, 16
	s_add_co_i32 s2, s2, 1
	s_wait_kmcnt 0x0
	s_load_b64 s[20:21], s[4:5], 0x0
	s_load_b32 s22, s[0:1], 0x70
	s_wait_xcnt 0x0
	s_bfe_u32 s4, ttmp6, 0x40008
	s_mul_i32 s5, s3, s2
	s_getreg_b32 s2, hwreg(HW_REG_IB_STS2, 6, 4)
	s_add_co_i32 s4, s4, s5
	s_cmp_eq_u32 s2, 0
	s_cselect_b32 s23, s3, s4
	s_wait_kmcnt 0x0
	s_cmp_eq_f32 s20, 0
	s_cselect_b32 s3, -1, 0
	s_cmp_eq_f32 s21, 0
	s_cselect_b32 s4, -1, 0
	s_delay_alu instid0(SALU_CYCLE_1) | instskip(SKIP_2) | instid1(SALU_CYCLE_1)
	s_and_b32 s3, s3, s4
	s_cmp_ge_u32 s23, s22
	s_cselect_b32 s4, -1, 0
	s_or_b32 s3, s3, s4
	s_delay_alu instid0(SALU_CYCLE_1)
	s_and_b32 vcc_lo, exec_lo, s3
	s_cbranch_vccnz .LBB12_10
; %bb.2:
	s_clause 0x3
	s_load_b64 s[4:5], s[0:1], 0x0
	s_load_b128 s[12:15], s[0:1], 0x30
	s_load_b64 s[26:27], s[0:1], 0x40
	s_load_b128 s[16:19], s[0:1], 0x50
	v_bfe_u32 v1, v0, 10, 10
	v_and_b32_e32 v0, 0x3ff, v0
	s_wait_kmcnt 0x0
	s_bitcmp1_b32 s4, 0
	s_cselect_b32 s3, -1, 0
	s_bfe_u32 s25, ttmp6, 0x40010
	s_bfe_u32 s30, ttmp6, 0x4000c
	s_and_b32 s4, ttmp7, 0xffff
	s_add_co_i32 s25, s25, 1
	s_add_co_i32 s30, s30, 1
	s_bfe_u32 s28, ttmp6, 0x40004
	s_and_b32 s29, ttmp6, 15
	s_xor_b32 s24, s3, -1
	s_mul_i32 s3, s4, s25
	s_mul_i32 s25, ttmp9, s30
	s_add_co_i32 s28, s28, s3
	s_add_co_i32 s29, s29, s25
	s_cmp_eq_u32 s2, 0
	s_cselect_b32 s2, s4, s28
	s_delay_alu instid0(SALU_CYCLE_1) | instskip(SKIP_1) | instid1(SALU_CYCLE_1)
	v_lshl_add_u32 v12, s2, 3, v1
	s_cselect_b32 s2, ttmp9, s29
	v_lshl_add_u32 v0, s2, 7, v0
	s_delay_alu instid0(VALU_DEP_2) | instskip(NEXT) | instid1(VALU_DEP_2)
	v_ashrrev_i32_e32 v13, 31, v12
	v_ashrrev_i32_e32 v1, 31, v0
	v_cmp_gt_i32_e32 vcc_lo, s5, v0
	s_delay_alu instid0(VALU_DEP_3)
	v_mul_u64_e32 v[2:3], s[26:27], v[12:13]
	v_mul_u64_e32 v[4:5], s[10:11], v[12:13]
	v_mul_u64_e32 v[6:7], s[18:19], v[12:13]
	v_mul_u64_e32 v[8:9], s[10:11], v[0:1]
	v_mul_u64_e32 v[10:11], s[26:27], v[0:1]
	s_load_b64 s[18:19], s[0:1], 0x60
	s_wait_xcnt 0x0
	v_cmp_le_i32_e64 s0, v12, v0
	v_cmp_gt_i32_e64 s1, s5, v12
	v_cmp_le_i32_e64 s2, v0, v12
	s_lshl_b64 s[4:5], s[8:9], 3
	s_lshl_b64 s[8:9], s[14:15], 3
	s_and_b32 s10, s0, vcc_lo
	s_mov_b32 s0, s21
	s_and_b32 s11, s2, s1
	s_mov_b32 s1, s20
	s_wait_kmcnt 0x0
	s_lshl_b64 s[2:3], s[18:19], 3
	s_branch .LBB12_4
.LBB12_3:                               ;   in Loop: Header=BB12_4 Depth=1
	s_wait_xcnt 0x0
	s_or_b32 exec_lo, exec_lo, s14
	s_add_co_i32 s23, s23, 0x10000
	s_delay_alu instid0(SALU_CYCLE_1)
	s_cmp_lt_u32 s23, s22
	s_cbranch_scc0 .LBB12_10
.LBB12_4:                               ; =>This Inner Loop Header: Depth=1
	v_mov_b32_e32 v18, s23
	s_mov_b32 s15, 0
	s_and_b32 vcc_lo, exec_lo, s24
	s_mov_b32 s14, -1
	s_wait_loadcnt 0x2
	global_load_b64 v[12:13], v18, s[16:17] scale_offset
	s_wait_loadcnt 0x2
	global_load_b64 v[14:15], v18, s[6:7] scale_offset
	;; [unrolled: 2-line block ×3, first 2 shown]
	s_cbranch_vccnz .LBB12_7
; %bb.5:                                ;   in Loop: Header=BB12_4 Depth=1
	s_and_not1_b32 vcc_lo, exec_lo, s14
	s_cbranch_vccz .LBB12_8
.LBB12_6:                               ;   in Loop: Header=BB12_4 Depth=1
	s_wait_xcnt 0x0
	s_and_saveexec_b32 s14, s15
	s_cbranch_execz .LBB12_3
	s_branch .LBB12_9
.LBB12_7:                               ;   in Loop: Header=BB12_4 Depth=1
	s_and_b32 s15, s10, exec_lo
	s_cbranch_execnz .LBB12_6
.LBB12_8:                               ;   in Loop: Header=BB12_4 Depth=1
	s_and_not1_b32 s14, s15, exec_lo
	s_and_b32 s15, s11, exec_lo
	s_delay_alu instid0(SALU_CYCLE_1)
	s_or_b32 s15, s14, s15
	s_wait_xcnt 0x0
	s_and_saveexec_b32 s14, s15
	s_cbranch_execz .LBB12_3
.LBB12_9:                               ;   in Loop: Header=BB12_4 Depth=1
	s_wait_loadcnt 0x1
	v_add_nc_u64_e32 v[14:15], s[4:5], v[14:15]
	s_wait_loadcnt 0x0
	v_add_nc_u64_e32 v[16:17], s[8:9], v[16:17]
	v_add_nc_u64_e32 v[12:13], s[2:3], v[12:13]
	v_mov_b64_e32 v[26:27], s[20:21]
	s_delay_alu instid0(VALU_DEP_4) | instskip(NEXT) | instid1(VALU_DEP_4)
	v_lshl_add_u64 v[18:19], v[8:9], 3, v[14:15]
	v_lshl_add_u64 v[20:21], v[10:11], 3, v[16:17]
	;; [unrolled: 1-line block ×5, first 2 shown]
	flat_load_b64 v[22:23], v[18:19]
	s_clause 0x1
	flat_load_b64 v[24:25], v[20:21]
	flat_load_b64 v[18:19], v[16:17]
	;; [unrolled: 1-line block ×3, first 2 shown]
	s_wait_xcnt 0x1
	v_mov_b64_e32 v[16:17], s[0:1]
	v_lshl_add_u64 v[12:13], v[0:1], 3, v[12:13]
	flat_load_b64 v[14:15], v[12:13]
	s_wait_loadcnt_dscnt 0x404
	v_pk_mul_f32 v[28:29], v[16:17], v[22:23]
	s_wait_loadcnt_dscnt 0x303
	v_pk_mul_f32 v[16:17], v[16:17], v[24:25]
	v_pk_mul_f32 v[22:23], v[26:27], v[22:23]
	v_pk_mul_f32 v[24:25], v[26:27], v[24:25]
	v_add_f32_e32 v26, v28, v29
	s_delay_alu instid0(VALU_DEP_4) | instskip(NEXT) | instid1(VALU_DEP_4)
	v_add_f32_e32 v16, v16, v17
	v_pk_add_f32 v[22:23], v[22:23], v[22:23] op_sel:[0,1] op_sel_hi:[0,1] neg_lo:[0,1] neg_hi:[0,1]
	s_delay_alu instid0(VALU_DEP_4) | instskip(SKIP_4) | instid1(VALU_DEP_2)
	v_pk_add_f32 v[24:25], v[24:25], v[24:25] op_sel:[0,1] op_sel_hi:[0,1] neg_lo:[0,1] neg_hi:[0,1]
	s_wait_loadcnt_dscnt 0x202
	v_pk_mul_f32 v[26:27], v[18:19], v[26:27] op_sel:[1,0] op_sel_hi:[0,0]
	s_wait_loadcnt_dscnt 0x101
	v_pk_mul_f32 v[16:17], v[20:21], v[16:17] op_sel:[1,0] op_sel_hi:[0,0]
	v_pk_fma_f32 v[28:29], v[18:19], v[22:23], v[26:27]
	s_delay_alu instid0(VALU_DEP_2) | instskip(SKIP_2) | instid1(VALU_DEP_3)
	v_pk_fma_f32 v[30:31], v[20:21], v[24:25], v[16:17]
	v_pk_fma_f32 v[18:19], v[18:19], v[22:23], v[26:27] neg_lo:[0,0,1] neg_hi:[0,0,1]
	v_pk_fma_f32 v[16:17], v[20:21], v[24:25], v[16:17] neg_lo:[0,0,1] neg_hi:[0,0,1]
	v_dual_mov_b32 v19, v29 :: v_dual_mov_b32 v17, v31
	s_delay_alu instid0(VALU_DEP_1) | instskip(SKIP_1) | instid1(VALU_DEP_1)
	v_pk_add_f32 v[16:17], v[18:19], v[16:17]
	s_wait_loadcnt_dscnt 0x0
	v_pk_add_f32 v[14:15], v[14:15], v[16:17]
	flat_store_b64 v[12:13], v[14:15]
	s_branch .LBB12_3
.LBB12_10:
	s_endpgm
	.section	.rodata,"a",@progbits
	.p2align	6, 0x0
	.amdhsa_kernel _ZL19rocblas_syr2_kernelILi128ELi8ELi1EPK19rocblas_complex_numIfEPKS3_PKPS1_EvbiT2_T3_lllSA_lllT4_llli
		.amdhsa_group_segment_fixed_size 0
		.amdhsa_private_segment_fixed_size 0
		.amdhsa_kernarg_size 376
		.amdhsa_user_sgpr_count 2
		.amdhsa_user_sgpr_dispatch_ptr 0
		.amdhsa_user_sgpr_queue_ptr 0
		.amdhsa_user_sgpr_kernarg_segment_ptr 1
		.amdhsa_user_sgpr_dispatch_id 0
		.amdhsa_user_sgpr_kernarg_preload_length 0
		.amdhsa_user_sgpr_kernarg_preload_offset 0
		.amdhsa_user_sgpr_private_segment_size 0
		.amdhsa_wavefront_size32 1
		.amdhsa_uses_dynamic_stack 0
		.amdhsa_enable_private_segment 0
		.amdhsa_system_sgpr_workgroup_id_x 1
		.amdhsa_system_sgpr_workgroup_id_y 1
		.amdhsa_system_sgpr_workgroup_id_z 1
		.amdhsa_system_sgpr_workgroup_info 0
		.amdhsa_system_vgpr_workitem_id 1
		.amdhsa_next_free_vgpr 32
		.amdhsa_next_free_sgpr 31
		.amdhsa_named_barrier_count 0
		.amdhsa_reserve_vcc 1
		.amdhsa_float_round_mode_32 0
		.amdhsa_float_round_mode_16_64 0
		.amdhsa_float_denorm_mode_32 3
		.amdhsa_float_denorm_mode_16_64 3
		.amdhsa_fp16_overflow 0
		.amdhsa_memory_ordered 1
		.amdhsa_forward_progress 1
		.amdhsa_inst_pref_size 8
		.amdhsa_round_robin_scheduling 0
		.amdhsa_exception_fp_ieee_invalid_op 0
		.amdhsa_exception_fp_denorm_src 0
		.amdhsa_exception_fp_ieee_div_zero 0
		.amdhsa_exception_fp_ieee_overflow 0
		.amdhsa_exception_fp_ieee_underflow 0
		.amdhsa_exception_fp_ieee_inexact 0
		.amdhsa_exception_int_div_zero 0
	.end_amdhsa_kernel
	.section	.text._ZL19rocblas_syr2_kernelILi128ELi8ELi1EPK19rocblas_complex_numIfEPKS3_PKPS1_EvbiT2_T3_lllSA_lllT4_llli,"axG",@progbits,_ZL19rocblas_syr2_kernelILi128ELi8ELi1EPK19rocblas_complex_numIfEPKS3_PKPS1_EvbiT2_T3_lllSA_lllT4_llli,comdat
.Lfunc_end12:
	.size	_ZL19rocblas_syr2_kernelILi128ELi8ELi1EPK19rocblas_complex_numIfEPKS3_PKPS1_EvbiT2_T3_lllSA_lllT4_llli, .Lfunc_end12-_ZL19rocblas_syr2_kernelILi128ELi8ELi1EPK19rocblas_complex_numIfEPKS3_PKPS1_EvbiT2_T3_lllSA_lllT4_llli
                                        ; -- End function
	.set _ZL19rocblas_syr2_kernelILi128ELi8ELi1EPK19rocblas_complex_numIfEPKS3_PKPS1_EvbiT2_T3_lllSA_lllT4_llli.num_vgpr, 32
	.set _ZL19rocblas_syr2_kernelILi128ELi8ELi1EPK19rocblas_complex_numIfEPKS3_PKPS1_EvbiT2_T3_lllSA_lllT4_llli.num_agpr, 0
	.set _ZL19rocblas_syr2_kernelILi128ELi8ELi1EPK19rocblas_complex_numIfEPKS3_PKPS1_EvbiT2_T3_lllSA_lllT4_llli.numbered_sgpr, 31
	.set _ZL19rocblas_syr2_kernelILi128ELi8ELi1EPK19rocblas_complex_numIfEPKS3_PKPS1_EvbiT2_T3_lllSA_lllT4_llli.num_named_barrier, 0
	.set _ZL19rocblas_syr2_kernelILi128ELi8ELi1EPK19rocblas_complex_numIfEPKS3_PKPS1_EvbiT2_T3_lllSA_lllT4_llli.private_seg_size, 0
	.set _ZL19rocblas_syr2_kernelILi128ELi8ELi1EPK19rocblas_complex_numIfEPKS3_PKPS1_EvbiT2_T3_lllSA_lllT4_llli.uses_vcc, 1
	.set _ZL19rocblas_syr2_kernelILi128ELi8ELi1EPK19rocblas_complex_numIfEPKS3_PKPS1_EvbiT2_T3_lllSA_lllT4_llli.uses_flat_scratch, 1
	.set _ZL19rocblas_syr2_kernelILi128ELi8ELi1EPK19rocblas_complex_numIfEPKS3_PKPS1_EvbiT2_T3_lllSA_lllT4_llli.has_dyn_sized_stack, 0
	.set _ZL19rocblas_syr2_kernelILi128ELi8ELi1EPK19rocblas_complex_numIfEPKS3_PKPS1_EvbiT2_T3_lllSA_lllT4_llli.has_recursion, 0
	.set _ZL19rocblas_syr2_kernelILi128ELi8ELi1EPK19rocblas_complex_numIfEPKS3_PKPS1_EvbiT2_T3_lllSA_lllT4_llli.has_indirect_call, 0
	.section	.AMDGPU.csdata,"",@progbits
; Kernel info:
; codeLenInByte = 948
; TotalNumSgprs: 33
; NumVgprs: 32
; ScratchSize: 0
; MemoryBound: 0
; FloatMode: 240
; IeeeMode: 1
; LDSByteSize: 0 bytes/workgroup (compile time only)
; SGPRBlocks: 0
; VGPRBlocks: 1
; NumSGPRsForWavesPerEU: 33
; NumVGPRsForWavesPerEU: 32
; NamedBarCnt: 0
; Occupancy: 16
; WaveLimiterHint : 1
; COMPUTE_PGM_RSRC2:SCRATCH_EN: 0
; COMPUTE_PGM_RSRC2:USER_SGPR: 2
; COMPUTE_PGM_RSRC2:TRAP_HANDLER: 0
; COMPUTE_PGM_RSRC2:TGID_X_EN: 1
; COMPUTE_PGM_RSRC2:TGID_Y_EN: 1
; COMPUTE_PGM_RSRC2:TGID_Z_EN: 1
; COMPUTE_PGM_RSRC2:TIDIG_COMP_CNT: 1
	.section	.text._ZL19rocblas_syr2_kernelILi128ELi8ELi1E19rocblas_complex_numIfEPKPKS1_PKPS1_EvbiT2_T3_lllSA_lllT4_llli,"axG",@progbits,_ZL19rocblas_syr2_kernelILi128ELi8ELi1E19rocblas_complex_numIfEPKPKS1_PKPS1_EvbiT2_T3_lllSA_lllT4_llli,comdat
	.globl	_ZL19rocblas_syr2_kernelILi128ELi8ELi1E19rocblas_complex_numIfEPKPKS1_PKPS1_EvbiT2_T3_lllSA_lllT4_llli ; -- Begin function _ZL19rocblas_syr2_kernelILi128ELi8ELi1E19rocblas_complex_numIfEPKPKS1_PKPS1_EvbiT2_T3_lllSA_lllT4_llli
	.p2align	8
	.type	_ZL19rocblas_syr2_kernelILi128ELi8ELi1E19rocblas_complex_numIfEPKPKS1_PKPS1_EvbiT2_T3_lllSA_lllT4_llli,@function
_ZL19rocblas_syr2_kernelILi128ELi8ELi1E19rocblas_complex_numIfEPKPKS1_PKPS1_EvbiT2_T3_lllSA_lllT4_llli: ; @_ZL19rocblas_syr2_kernelILi128ELi8ELi1E19rocblas_complex_numIfEPKPKS1_PKPS1_EvbiT2_T3_lllSA_lllT4_llli
; %bb.0:
	s_load_b64 s[2:3], s[0:1], 0x84
	s_wait_kmcnt 0x0
	s_lshr_b32 s4, s2, 16
	s_and_b32 s2, s2, 0xffff
	s_and_b32 s3, s3, 0xffff
	s_mul_i32 s2, s4, s2
	s_delay_alu instid0(SALU_CYCLE_1) | instskip(NEXT) | instid1(SALU_CYCLE_1)
	s_mul_i32 s2, s2, s3
	s_cmp_lg_u32 s2, 0x400
	s_cbranch_scc1 .LBB13_10
; %bb.1:
	s_clause 0x1
	s_load_b64 s[16:17], s[0:1], 0x8
	s_load_b32 s18, s[0:1], 0x70
	s_bfe_u32 s2, ttmp6, 0x40014
	s_lshr_b32 s3, ttmp7, 16
	s_add_co_i32 s2, s2, 1
	s_bfe_u32 s4, ttmp6, 0x40008
	s_mul_i32 s5, s3, s2
	s_getreg_b32 s2, hwreg(HW_REG_IB_STS2, 6, 4)
	s_add_co_i32 s4, s4, s5
	s_cmp_eq_u32 s2, 0
	s_cselect_b32 s19, s3, s4
	s_wait_kmcnt 0x0
	s_cmp_eq_f32 s16, 0
	s_cselect_b32 s3, -1, 0
	s_cmp_eq_f32 s17, 0
	s_cselect_b32 s4, -1, 0
	s_delay_alu instid0(SALU_CYCLE_1) | instskip(SKIP_2) | instid1(SALU_CYCLE_1)
	s_and_b32 s3, s3, s4
	s_cmp_ge_u32 s19, s18
	s_cselect_b32 s4, -1, 0
	s_or_b32 s3, s3, s4
	s_delay_alu instid0(SALU_CYCLE_1)
	s_and_b32 vcc_lo, exec_lo, s3
	s_cbranch_vccnz .LBB13_10
; %bb.2:
	s_clause 0x4
	s_load_b64 s[20:21], s[0:1], 0x0
	s_load_b128 s[4:7], s[0:1], 0x10
	s_load_b64 s[22:23], s[0:1], 0x20
	s_load_b64 s[24:25], s[0:1], 0x40
	s_load_b128 s[8:11], s[0:1], 0x50
	v_bfe_u32 v1, v0, 10, 10
	v_and_b32_e32 v0, 0x3ff, v0
	s_wait_kmcnt 0x0
	s_bitcmp1_b32 s20, 0
	s_cselect_b32 s3, -1, 0
	s_bfe_u32 s13, ttmp6, 0x40010
	s_bfe_u32 s26, ttmp6, 0x4000c
	s_and_b32 s12, ttmp7, 0xffff
	s_add_co_i32 s13, s13, 1
	s_add_co_i32 s26, s26, 1
	s_bfe_u32 s14, ttmp6, 0x40004
	s_and_b32 s15, ttmp6, 15
	s_xor_b32 s20, s3, -1
	s_mul_i32 s3, s12, s13
	s_mul_i32 s13, ttmp9, s26
	s_add_co_i32 s14, s14, s3
	s_add_co_i32 s15, s15, s13
	s_cmp_eq_u32 s2, 0
	s_cselect_b32 s2, s12, s14
	s_delay_alu instid0(SALU_CYCLE_1)
	v_lshl_add_u32 v12, s2, 3, v1
	s_cselect_b32 s2, ttmp9, s15
	s_load_b128 s[12:15], s[0:1], 0x30
	v_lshl_add_u32 v0, s2, 7, v0
	s_lshl_b64 s[6:7], s[6:7], 3
	v_ashrrev_i32_e32 v13, 31, v12
	s_delay_alu instid0(VALU_DEP_2) | instskip(SKIP_1) | instid1(VALU_DEP_3)
	v_ashrrev_i32_e32 v1, 31, v0
	v_cmp_gt_i32_e32 vcc_lo, s21, v0
	v_mul_u64_e32 v[2:3], s[24:25], v[12:13]
	v_mul_u64_e32 v[4:5], s[22:23], v[12:13]
	;; [unrolled: 1-line block ×5, first 2 shown]
	s_load_b64 s[10:11], s[0:1], 0x60
	s_wait_xcnt 0x0
	v_cmp_le_i32_e64 s0, v12, v0
	v_cmp_gt_i32_e64 s1, s21, v12
	v_cmp_le_i32_e64 s2, v0, v12
	s_and_b32 s21, s0, vcc_lo
	s_mov_b32 s0, s17
	s_and_b32 s22, s2, s1
	s_mov_b32 s1, s16
	s_wait_kmcnt 0x0
	s_lshl_b64 s[2:3], s[10:11], 3
	s_lshl_b64 s[10:11], s[14:15], 3
	s_branch .LBB13_4
.LBB13_3:                               ;   in Loop: Header=BB13_4 Depth=1
	s_wait_xcnt 0x0
	s_or_b32 exec_lo, exec_lo, s14
	s_add_co_i32 s19, s19, 0x10000
	s_delay_alu instid0(SALU_CYCLE_1)
	s_cmp_lt_u32 s19, s18
	s_cbranch_scc0 .LBB13_10
.LBB13_4:                               ; =>This Inner Loop Header: Depth=1
	v_mov_b32_e32 v18, s19
	s_mov_b32 s15, 0
	s_and_b32 vcc_lo, exec_lo, s20
	s_mov_b32 s14, -1
	s_wait_loadcnt 0x2
	global_load_b64 v[12:13], v18, s[8:9] scale_offset
	s_wait_loadcnt 0x2
	global_load_b64 v[14:15], v18, s[4:5] scale_offset
	;; [unrolled: 2-line block ×3, first 2 shown]
	s_cbranch_vccnz .LBB13_7
; %bb.5:                                ;   in Loop: Header=BB13_4 Depth=1
	s_and_not1_b32 vcc_lo, exec_lo, s14
	s_cbranch_vccz .LBB13_8
.LBB13_6:                               ;   in Loop: Header=BB13_4 Depth=1
	s_wait_xcnt 0x0
	s_and_saveexec_b32 s14, s15
	s_cbranch_execz .LBB13_3
	s_branch .LBB13_9
.LBB13_7:                               ;   in Loop: Header=BB13_4 Depth=1
	s_and_b32 s15, s21, exec_lo
	s_cbranch_execnz .LBB13_6
.LBB13_8:                               ;   in Loop: Header=BB13_4 Depth=1
	s_and_not1_b32 s14, s15, exec_lo
	s_and_b32 s15, s22, exec_lo
	s_delay_alu instid0(SALU_CYCLE_1)
	s_or_b32 s15, s14, s15
	s_wait_xcnt 0x0
	s_and_saveexec_b32 s14, s15
	s_cbranch_execz .LBB13_3
.LBB13_9:                               ;   in Loop: Header=BB13_4 Depth=1
	s_wait_loadcnt 0x1
	v_add_nc_u64_e32 v[14:15], s[6:7], v[14:15]
	s_wait_loadcnt 0x0
	v_add_nc_u64_e32 v[16:17], s[10:11], v[16:17]
	v_add_nc_u64_e32 v[12:13], s[2:3], v[12:13]
	v_mov_b64_e32 v[26:27], s[16:17]
	s_delay_alu instid0(VALU_DEP_4) | instskip(NEXT) | instid1(VALU_DEP_4)
	v_lshl_add_u64 v[18:19], v[8:9], 3, v[14:15]
	v_lshl_add_u64 v[20:21], v[10:11], 3, v[16:17]
	;; [unrolled: 1-line block ×5, first 2 shown]
	flat_load_b64 v[22:23], v[18:19]
	s_clause 0x1
	flat_load_b64 v[24:25], v[20:21]
	flat_load_b64 v[18:19], v[16:17]
	;; [unrolled: 1-line block ×3, first 2 shown]
	s_wait_xcnt 0x1
	v_mov_b64_e32 v[16:17], s[0:1]
	v_lshl_add_u64 v[12:13], v[0:1], 3, v[12:13]
	flat_load_b64 v[14:15], v[12:13]
	s_wait_loadcnt_dscnt 0x404
	v_pk_mul_f32 v[28:29], v[16:17], v[22:23]
	s_wait_loadcnt_dscnt 0x303
	v_pk_mul_f32 v[16:17], v[16:17], v[24:25]
	v_pk_mul_f32 v[22:23], v[26:27], v[22:23]
	;; [unrolled: 1-line block ×3, first 2 shown]
	v_add_f32_e32 v26, v28, v29
	s_delay_alu instid0(VALU_DEP_4) | instskip(NEXT) | instid1(VALU_DEP_4)
	v_add_f32_e32 v16, v16, v17
	v_pk_add_f32 v[22:23], v[22:23], v[22:23] op_sel:[0,1] op_sel_hi:[0,1] neg_lo:[0,1] neg_hi:[0,1]
	s_delay_alu instid0(VALU_DEP_4) | instskip(SKIP_4) | instid1(VALU_DEP_2)
	v_pk_add_f32 v[24:25], v[24:25], v[24:25] op_sel:[0,1] op_sel_hi:[0,1] neg_lo:[0,1] neg_hi:[0,1]
	s_wait_loadcnt_dscnt 0x202
	v_pk_mul_f32 v[26:27], v[18:19], v[26:27] op_sel:[1,0] op_sel_hi:[0,0]
	s_wait_loadcnt_dscnt 0x101
	v_pk_mul_f32 v[16:17], v[20:21], v[16:17] op_sel:[1,0] op_sel_hi:[0,0]
	v_pk_fma_f32 v[28:29], v[18:19], v[22:23], v[26:27]
	s_delay_alu instid0(VALU_DEP_2) | instskip(SKIP_2) | instid1(VALU_DEP_3)
	v_pk_fma_f32 v[30:31], v[20:21], v[24:25], v[16:17]
	v_pk_fma_f32 v[18:19], v[18:19], v[22:23], v[26:27] neg_lo:[0,0,1] neg_hi:[0,0,1]
	v_pk_fma_f32 v[16:17], v[20:21], v[24:25], v[16:17] neg_lo:[0,0,1] neg_hi:[0,0,1]
	v_dual_mov_b32 v19, v29 :: v_dual_mov_b32 v17, v31
	s_delay_alu instid0(VALU_DEP_1) | instskip(SKIP_1) | instid1(VALU_DEP_1)
	v_pk_add_f32 v[16:17], v[18:19], v[16:17]
	s_wait_loadcnt_dscnt 0x0
	v_pk_add_f32 v[14:15], v[14:15], v[16:17]
	flat_store_b64 v[12:13], v[14:15]
	s_branch .LBB13_3
.LBB13_10:
	s_endpgm
	.section	.rodata,"a",@progbits
	.p2align	6, 0x0
	.amdhsa_kernel _ZL19rocblas_syr2_kernelILi128ELi8ELi1E19rocblas_complex_numIfEPKPKS1_PKPS1_EvbiT2_T3_lllSA_lllT4_llli
		.amdhsa_group_segment_fixed_size 0
		.amdhsa_private_segment_fixed_size 0
		.amdhsa_kernarg_size 376
		.amdhsa_user_sgpr_count 2
		.amdhsa_user_sgpr_dispatch_ptr 0
		.amdhsa_user_sgpr_queue_ptr 0
		.amdhsa_user_sgpr_kernarg_segment_ptr 1
		.amdhsa_user_sgpr_dispatch_id 0
		.amdhsa_user_sgpr_kernarg_preload_length 0
		.amdhsa_user_sgpr_kernarg_preload_offset 0
		.amdhsa_user_sgpr_private_segment_size 0
		.amdhsa_wavefront_size32 1
		.amdhsa_uses_dynamic_stack 0
		.amdhsa_enable_private_segment 0
		.amdhsa_system_sgpr_workgroup_id_x 1
		.amdhsa_system_sgpr_workgroup_id_y 1
		.amdhsa_system_sgpr_workgroup_id_z 1
		.amdhsa_system_sgpr_workgroup_info 0
		.amdhsa_system_vgpr_workitem_id 1
		.amdhsa_next_free_vgpr 32
		.amdhsa_next_free_sgpr 27
		.amdhsa_named_barrier_count 0
		.amdhsa_reserve_vcc 1
		.amdhsa_float_round_mode_32 0
		.amdhsa_float_round_mode_16_64 0
		.amdhsa_float_denorm_mode_32 3
		.amdhsa_float_denorm_mode_16_64 3
		.amdhsa_fp16_overflow 0
		.amdhsa_memory_ordered 1
		.amdhsa_forward_progress 1
		.amdhsa_inst_pref_size 8
		.amdhsa_round_robin_scheduling 0
		.amdhsa_exception_fp_ieee_invalid_op 0
		.amdhsa_exception_fp_denorm_src 0
		.amdhsa_exception_fp_ieee_div_zero 0
		.amdhsa_exception_fp_ieee_overflow 0
		.amdhsa_exception_fp_ieee_underflow 0
		.amdhsa_exception_fp_ieee_inexact 0
		.amdhsa_exception_int_div_zero 0
	.end_amdhsa_kernel
	.section	.text._ZL19rocblas_syr2_kernelILi128ELi8ELi1E19rocblas_complex_numIfEPKPKS1_PKPS1_EvbiT2_T3_lllSA_lllT4_llli,"axG",@progbits,_ZL19rocblas_syr2_kernelILi128ELi8ELi1E19rocblas_complex_numIfEPKPKS1_PKPS1_EvbiT2_T3_lllSA_lllT4_llli,comdat
.Lfunc_end13:
	.size	_ZL19rocblas_syr2_kernelILi128ELi8ELi1E19rocblas_complex_numIfEPKPKS1_PKPS1_EvbiT2_T3_lllSA_lllT4_llli, .Lfunc_end13-_ZL19rocblas_syr2_kernelILi128ELi8ELi1E19rocblas_complex_numIfEPKPKS1_PKPS1_EvbiT2_T3_lllSA_lllT4_llli
                                        ; -- End function
	.set _ZL19rocblas_syr2_kernelILi128ELi8ELi1E19rocblas_complex_numIfEPKPKS1_PKPS1_EvbiT2_T3_lllSA_lllT4_llli.num_vgpr, 32
	.set _ZL19rocblas_syr2_kernelILi128ELi8ELi1E19rocblas_complex_numIfEPKPKS1_PKPS1_EvbiT2_T3_lllSA_lllT4_llli.num_agpr, 0
	.set _ZL19rocblas_syr2_kernelILi128ELi8ELi1E19rocblas_complex_numIfEPKPKS1_PKPS1_EvbiT2_T3_lllSA_lllT4_llli.numbered_sgpr, 27
	.set _ZL19rocblas_syr2_kernelILi128ELi8ELi1E19rocblas_complex_numIfEPKPKS1_PKPS1_EvbiT2_T3_lllSA_lllT4_llli.num_named_barrier, 0
	.set _ZL19rocblas_syr2_kernelILi128ELi8ELi1E19rocblas_complex_numIfEPKPKS1_PKPS1_EvbiT2_T3_lllSA_lllT4_llli.private_seg_size, 0
	.set _ZL19rocblas_syr2_kernelILi128ELi8ELi1E19rocblas_complex_numIfEPKPKS1_PKPS1_EvbiT2_T3_lllSA_lllT4_llli.uses_vcc, 1
	.set _ZL19rocblas_syr2_kernelILi128ELi8ELi1E19rocblas_complex_numIfEPKPKS1_PKPS1_EvbiT2_T3_lllSA_lllT4_llli.uses_flat_scratch, 1
	.set _ZL19rocblas_syr2_kernelILi128ELi8ELi1E19rocblas_complex_numIfEPKPKS1_PKPS1_EvbiT2_T3_lllSA_lllT4_llli.has_dyn_sized_stack, 0
	.set _ZL19rocblas_syr2_kernelILi128ELi8ELi1E19rocblas_complex_numIfEPKPKS1_PKPS1_EvbiT2_T3_lllSA_lllT4_llli.has_recursion, 0
	.set _ZL19rocblas_syr2_kernelILi128ELi8ELi1E19rocblas_complex_numIfEPKPKS1_PKPS1_EvbiT2_T3_lllSA_lllT4_llli.has_indirect_call, 0
	.section	.AMDGPU.csdata,"",@progbits
; Kernel info:
; codeLenInByte = 948
; TotalNumSgprs: 29
; NumVgprs: 32
; ScratchSize: 0
; MemoryBound: 0
; FloatMode: 240
; IeeeMode: 1
; LDSByteSize: 0 bytes/workgroup (compile time only)
; SGPRBlocks: 0
; VGPRBlocks: 1
; NumSGPRsForWavesPerEU: 29
; NumVGPRsForWavesPerEU: 32
; NamedBarCnt: 0
; Occupancy: 16
; WaveLimiterHint : 1
; COMPUTE_PGM_RSRC2:SCRATCH_EN: 0
; COMPUTE_PGM_RSRC2:USER_SGPR: 2
; COMPUTE_PGM_RSRC2:TRAP_HANDLER: 0
; COMPUTE_PGM_RSRC2:TGID_X_EN: 1
; COMPUTE_PGM_RSRC2:TGID_Y_EN: 1
; COMPUTE_PGM_RSRC2:TGID_Z_EN: 1
; COMPUTE_PGM_RSRC2:TIDIG_COMP_CNT: 1
	.section	.text._ZL19rocblas_syr2_kernelILi128ELi8ELi1EPK19rocblas_complex_numIdEPKS3_PKPS1_EvbiT2_T3_lllSA_lllT4_llli,"axG",@progbits,_ZL19rocblas_syr2_kernelILi128ELi8ELi1EPK19rocblas_complex_numIdEPKS3_PKPS1_EvbiT2_T3_lllSA_lllT4_llli,comdat
	.globl	_ZL19rocblas_syr2_kernelILi128ELi8ELi1EPK19rocblas_complex_numIdEPKS3_PKPS1_EvbiT2_T3_lllSA_lllT4_llli ; -- Begin function _ZL19rocblas_syr2_kernelILi128ELi8ELi1EPK19rocblas_complex_numIdEPKS3_PKPS1_EvbiT2_T3_lllSA_lllT4_llli
	.p2align	8
	.type	_ZL19rocblas_syr2_kernelILi128ELi8ELi1EPK19rocblas_complex_numIdEPKS3_PKPS1_EvbiT2_T3_lllSA_lllT4_llli,@function
_ZL19rocblas_syr2_kernelILi128ELi8ELi1EPK19rocblas_complex_numIdEPKS3_PKPS1_EvbiT2_T3_lllSA_lllT4_llli: ; @_ZL19rocblas_syr2_kernelILi128ELi8ELi1EPK19rocblas_complex_numIdEPKS3_PKPS1_EvbiT2_T3_lllSA_lllT4_llli
; %bb.0:
	s_load_b64 s[2:3], s[0:1], 0x84
	s_wait_kmcnt 0x0
	s_lshr_b32 s4, s2, 16
	s_and_b32 s2, s2, 0xffff
	s_and_b32 s3, s3, 0xffff
	s_mul_i32 s2, s4, s2
	s_delay_alu instid0(SALU_CYCLE_1) | instskip(NEXT) | instid1(SALU_CYCLE_1)
	s_mul_i32 s2, s2, s3
	s_cmp_lg_u32 s2, 0x400
	s_cbranch_scc1 .LBB14_10
; %bb.1:
	s_clause 0x1
	s_load_b256 s[4:11], s[0:1], 0x8
	s_load_b32 s24, s[0:1], 0x70
	s_bfe_u32 s2, ttmp6, 0x40014
	s_bfe_u32 s17, ttmp6, 0x40008
	s_add_co_i32 s2, s2, 1
	s_wait_kmcnt 0x0
	s_load_b128 s[12:15], s[4:5], 0x0
	s_wait_xcnt 0x0
	s_lshr_b32 s5, ttmp7, 16
	s_delay_alu instid0(SALU_CYCLE_1)
	s_mul_i32 s16, s5, s2
	s_getreg_b32 s2, hwreg(HW_REG_IB_STS2, 6, 4)
	s_add_co_i32 s17, s17, s16
	s_cmp_eq_u32 s2, 0
	s_cselect_b32 s25, s5, s17
	s_wait_kmcnt 0x0
	v_cmp_eq_f64_e64 s3, s[12:13], 0
	v_cmp_eq_f64_e64 s4, s[14:15], 0
	s_and_b32 s3, s3, s4
	s_cmp_ge_u32 s25, s24
	s_cselect_b32 s4, -1, 0
	s_delay_alu instid0(SALU_CYCLE_1) | instskip(NEXT) | instid1(SALU_CYCLE_1)
	s_or_b32 s3, s3, s4
	s_and_b32 vcc_lo, exec_lo, s3
	s_cbranch_vccnz .LBB14_10
; %bb.2:
	s_clause 0x3
	s_load_b64 s[4:5], s[0:1], 0x0
	s_load_b128 s[16:19], s[0:1], 0x30
	s_load_b64 s[28:29], s[0:1], 0x40
	s_load_b128 s[20:23], s[0:1], 0x50
	v_bfe_u32 v1, v0, 10, 10
	v_and_b32_e32 v0, 0x3ff, v0
	s_wait_kmcnt 0x0
	s_bitcmp1_b32 s4, 0
	s_cselect_b32 s3, -1, 0
	s_bfe_u32 s27, ttmp6, 0x40010
	s_bfe_u32 s33, ttmp6, 0x4000c
	s_and_b32 s4, ttmp7, 0xffff
	s_add_co_i32 s27, s27, 1
	s_add_co_i32 s33, s33, 1
	s_bfe_u32 s30, ttmp6, 0x40004
	s_and_b32 s31, ttmp6, 15
	s_xor_b32 s26, s3, -1
	s_mul_i32 s3, s4, s27
	s_mul_i32 s27, ttmp9, s33
	s_add_co_i32 s30, s30, s3
	s_add_co_i32 s31, s31, s27
	s_cmp_eq_u32 s2, 0
	s_cselect_b32 s2, s4, s30
	s_delay_alu instid0(SALU_CYCLE_1) | instskip(SKIP_1) | instid1(SALU_CYCLE_1)
	v_lshl_add_u32 v12, s2, 3, v1
	s_cselect_b32 s2, ttmp9, s31
	v_lshl_add_u32 v0, s2, 7, v0
	s_delay_alu instid0(VALU_DEP_2) | instskip(NEXT) | instid1(VALU_DEP_2)
	v_ashrrev_i32_e32 v13, 31, v12
	v_ashrrev_i32_e32 v1, 31, v0
	v_cmp_gt_i32_e32 vcc_lo, s5, v0
	s_delay_alu instid0(VALU_DEP_3)
	v_mul_u64_e32 v[2:3], s[28:29], v[12:13]
	v_mul_u64_e32 v[4:5], s[10:11], v[12:13]
	;; [unrolled: 1-line block ×5, first 2 shown]
	s_load_b64 s[22:23], s[0:1], 0x60
	s_wait_xcnt 0x0
	v_cmp_le_i32_e64 s0, v12, v0
	v_cmp_gt_i32_e64 s1, s5, v12
	v_cmp_le_i32_e64 s2, v0, v12
	s_lshl_b64 s[4:5], s[18:19], 4
	s_and_b32 s10, s0, vcc_lo
	s_and_b32 s11, s2, s1
	s_lshl_b64 s[2:3], s[8:9], 4
	s_wait_kmcnt 0x0
	s_lshl_b64 s[0:1], s[22:23], 4
	s_branch .LBB14_4
.LBB14_3:                               ;   in Loop: Header=BB14_4 Depth=1
	s_wait_xcnt 0x0
	s_or_b32 exec_lo, exec_lo, s8
	s_add_co_i32 s25, s25, 0x10000
	s_delay_alu instid0(SALU_CYCLE_1)
	s_cmp_lt_u32 s25, s24
	s_cbranch_scc0 .LBB14_10
.LBB14_4:                               ; =>This Inner Loop Header: Depth=1
	s_mov_b32 s9, 0
	s_and_b32 vcc_lo, exec_lo, s26
	s_mov_b32 s8, -1
	s_cbranch_vccnz .LBB14_7
; %bb.5:                                ;   in Loop: Header=BB14_4 Depth=1
	s_and_not1_b32 vcc_lo, exec_lo, s8
	s_cbranch_vccz .LBB14_8
.LBB14_6:                               ;   in Loop: Header=BB14_4 Depth=1
	s_and_saveexec_b32 s8, s9
	s_cbranch_execz .LBB14_3
	s_branch .LBB14_9
.LBB14_7:                               ;   in Loop: Header=BB14_4 Depth=1
	s_and_b32 s9, s10, exec_lo
	s_cbranch_execnz .LBB14_6
.LBB14_8:                               ;   in Loop: Header=BB14_4 Depth=1
	s_and_not1_b32 s8, s9, exec_lo
	s_and_b32 s9, s11, exec_lo
	s_delay_alu instid0(SALU_CYCLE_1) | instskip(NEXT) | instid1(SALU_CYCLE_1)
	s_or_b32 s9, s8, s9
	s_and_saveexec_b32 s8, s9
	s_cbranch_execz .LBB14_3
.LBB14_9:                               ;   in Loop: Header=BB14_4 Depth=1
	s_load_b64 s[18:19], s[6:7], s25 offset:0x0 scale_offset
	s_load_b64 s[22:23], s[16:17], s25 offset:0x0 scale_offset
	s_wait_kmcnt 0x0
	s_add_nc_u64 s[18:19], s[18:19], s[2:3]
	s_add_nc_u64 s[22:23], s[22:23], s[4:5]
	v_lshl_add_u64 v[20:21], v[8:9], 4, s[18:19]
	v_lshl_add_u64 v[22:23], v[10:11], 4, s[22:23]
	;; [unrolled: 1-line block ×4, first 2 shown]
	flat_load_b128 v[12:15], v[20:21]
	s_clause 0x1
	flat_load_b128 v[16:19], v[22:23]
	flat_load_b128 v[20:23], v[28:29]
	;; [unrolled: 1-line block ×3, first 2 shown]
	s_load_b64 s[18:19], s[20:21], s25 offset:0x0 scale_offset
	s_wait_kmcnt 0x0
	s_add_nc_u64 s[18:19], s[18:19], s[0:1]
	s_delay_alu instid0(SALU_CYCLE_1) | instskip(NEXT) | instid1(VALU_DEP_1)
	v_lshl_add_u64 v[28:29], v[6:7], 4, s[18:19]
	v_lshl_add_u64 v[32:33], v[0:1], 4, v[28:29]
	flat_load_b128 v[28:31], v[32:33]
	s_wait_loadcnt_dscnt 0x404
	v_mul_f64_e32 v[34:35], s[12:13], v[14:15]
	s_wait_loadcnt_dscnt 0x303
	v_mul_f64_e32 v[36:37], s[12:13], v[18:19]
	v_mul_f64_e32 v[14:15], s[14:15], v[14:15]
	;; [unrolled: 1-line block ×3, first 2 shown]
	s_delay_alu instid0(VALU_DEP_4) | instskip(NEXT) | instid1(VALU_DEP_4)
	v_fmac_f64_e32 v[34:35], s[14:15], v[12:13]
	v_fmac_f64_e32 v[36:37], s[14:15], v[16:17]
	s_delay_alu instid0(VALU_DEP_4) | instskip(NEXT) | instid1(VALU_DEP_4)
	v_fma_f64 v[12:13], s[12:13], v[12:13], -v[14:15]
	v_fma_f64 v[14:15], s[12:13], v[16:17], -v[18:19]
	s_wait_loadcnt_dscnt 0x202
	s_delay_alu instid0(VALU_DEP_4) | instskip(SKIP_4) | instid1(VALU_DEP_4)
	v_mul_f64_e32 v[16:17], v[22:23], v[34:35]
	v_mul_f64_e32 v[18:19], v[20:21], v[34:35]
	s_wait_loadcnt_dscnt 0x101
	v_mul_f64_e32 v[34:35], v[26:27], v[36:37]
	v_mul_f64_e32 v[36:37], v[24:25], v[36:37]
	v_fma_f64 v[16:17], v[20:21], v[12:13], -v[16:17]
	s_delay_alu instid0(VALU_DEP_4) | instskip(NEXT) | instid1(VALU_DEP_4)
	v_fmac_f64_e32 v[18:19], v[22:23], v[12:13]
	v_fma_f64 v[12:13], v[24:25], v[14:15], -v[34:35]
	s_delay_alu instid0(VALU_DEP_4) | instskip(NEXT) | instid1(VALU_DEP_2)
	v_fmac_f64_e32 v[36:37], v[26:27], v[14:15]
	v_add_f64_e32 v[12:13], v[16:17], v[12:13]
	s_delay_alu instid0(VALU_DEP_2) | instskip(SKIP_1) | instid1(VALU_DEP_2)
	v_add_f64_e32 v[14:15], v[18:19], v[36:37]
	s_wait_loadcnt_dscnt 0x0
	v_add_f64_e32 v[12:13], v[28:29], v[12:13]
	s_delay_alu instid0(VALU_DEP_2)
	v_add_f64_e32 v[14:15], v[30:31], v[14:15]
	flat_store_b128 v[32:33], v[12:15]
	s_branch .LBB14_3
.LBB14_10:
	s_endpgm
	.section	.rodata,"a",@progbits
	.p2align	6, 0x0
	.amdhsa_kernel _ZL19rocblas_syr2_kernelILi128ELi8ELi1EPK19rocblas_complex_numIdEPKS3_PKPS1_EvbiT2_T3_lllSA_lllT4_llli
		.amdhsa_group_segment_fixed_size 0
		.amdhsa_private_segment_fixed_size 0
		.amdhsa_kernarg_size 376
		.amdhsa_user_sgpr_count 2
		.amdhsa_user_sgpr_dispatch_ptr 0
		.amdhsa_user_sgpr_queue_ptr 0
		.amdhsa_user_sgpr_kernarg_segment_ptr 1
		.amdhsa_user_sgpr_dispatch_id 0
		.amdhsa_user_sgpr_kernarg_preload_length 0
		.amdhsa_user_sgpr_kernarg_preload_offset 0
		.amdhsa_user_sgpr_private_segment_size 0
		.amdhsa_wavefront_size32 1
		.amdhsa_uses_dynamic_stack 0
		.amdhsa_enable_private_segment 0
		.amdhsa_system_sgpr_workgroup_id_x 1
		.amdhsa_system_sgpr_workgroup_id_y 1
		.amdhsa_system_sgpr_workgroup_id_z 1
		.amdhsa_system_sgpr_workgroup_info 0
		.amdhsa_system_vgpr_workitem_id 1
		.amdhsa_next_free_vgpr 38
		.amdhsa_next_free_sgpr 34
		.amdhsa_named_barrier_count 0
		.amdhsa_reserve_vcc 1
		.amdhsa_float_round_mode_32 0
		.amdhsa_float_round_mode_16_64 0
		.amdhsa_float_denorm_mode_32 3
		.amdhsa_float_denorm_mode_16_64 3
		.amdhsa_fp16_overflow 0
		.amdhsa_memory_ordered 1
		.amdhsa_forward_progress 1
		.amdhsa_inst_pref_size 7
		.amdhsa_round_robin_scheduling 0
		.amdhsa_exception_fp_ieee_invalid_op 0
		.amdhsa_exception_fp_denorm_src 0
		.amdhsa_exception_fp_ieee_div_zero 0
		.amdhsa_exception_fp_ieee_overflow 0
		.amdhsa_exception_fp_ieee_underflow 0
		.amdhsa_exception_fp_ieee_inexact 0
		.amdhsa_exception_int_div_zero 0
	.end_amdhsa_kernel
	.section	.text._ZL19rocblas_syr2_kernelILi128ELi8ELi1EPK19rocblas_complex_numIdEPKS3_PKPS1_EvbiT2_T3_lllSA_lllT4_llli,"axG",@progbits,_ZL19rocblas_syr2_kernelILi128ELi8ELi1EPK19rocblas_complex_numIdEPKS3_PKPS1_EvbiT2_T3_lllSA_lllT4_llli,comdat
.Lfunc_end14:
	.size	_ZL19rocblas_syr2_kernelILi128ELi8ELi1EPK19rocblas_complex_numIdEPKS3_PKPS1_EvbiT2_T3_lllSA_lllT4_llli, .Lfunc_end14-_ZL19rocblas_syr2_kernelILi128ELi8ELi1EPK19rocblas_complex_numIdEPKS3_PKPS1_EvbiT2_T3_lllSA_lllT4_llli
                                        ; -- End function
	.set _ZL19rocblas_syr2_kernelILi128ELi8ELi1EPK19rocblas_complex_numIdEPKS3_PKPS1_EvbiT2_T3_lllSA_lllT4_llli.num_vgpr, 38
	.set _ZL19rocblas_syr2_kernelILi128ELi8ELi1EPK19rocblas_complex_numIdEPKS3_PKPS1_EvbiT2_T3_lllSA_lllT4_llli.num_agpr, 0
	.set _ZL19rocblas_syr2_kernelILi128ELi8ELi1EPK19rocblas_complex_numIdEPKS3_PKPS1_EvbiT2_T3_lllSA_lllT4_llli.numbered_sgpr, 34
	.set _ZL19rocblas_syr2_kernelILi128ELi8ELi1EPK19rocblas_complex_numIdEPKS3_PKPS1_EvbiT2_T3_lllSA_lllT4_llli.num_named_barrier, 0
	.set _ZL19rocblas_syr2_kernelILi128ELi8ELi1EPK19rocblas_complex_numIdEPKS3_PKPS1_EvbiT2_T3_lllSA_lllT4_llli.private_seg_size, 0
	.set _ZL19rocblas_syr2_kernelILi128ELi8ELi1EPK19rocblas_complex_numIdEPKS3_PKPS1_EvbiT2_T3_lllSA_lllT4_llli.uses_vcc, 1
	.set _ZL19rocblas_syr2_kernelILi128ELi8ELi1EPK19rocblas_complex_numIdEPKS3_PKPS1_EvbiT2_T3_lllSA_lllT4_llli.uses_flat_scratch, 1
	.set _ZL19rocblas_syr2_kernelILi128ELi8ELi1EPK19rocblas_complex_numIdEPKS3_PKPS1_EvbiT2_T3_lllSA_lllT4_llli.has_dyn_sized_stack, 0
	.set _ZL19rocblas_syr2_kernelILi128ELi8ELi1EPK19rocblas_complex_numIdEPKS3_PKPS1_EvbiT2_T3_lllSA_lllT4_llli.has_recursion, 0
	.set _ZL19rocblas_syr2_kernelILi128ELi8ELi1EPK19rocblas_complex_numIdEPKS3_PKPS1_EvbiT2_T3_lllSA_lllT4_llli.has_indirect_call, 0
	.section	.AMDGPU.csdata,"",@progbits
; Kernel info:
; codeLenInByte = 872
; TotalNumSgprs: 36
; NumVgprs: 38
; ScratchSize: 0
; MemoryBound: 0
; FloatMode: 240
; IeeeMode: 1
; LDSByteSize: 0 bytes/workgroup (compile time only)
; SGPRBlocks: 0
; VGPRBlocks: 2
; NumSGPRsForWavesPerEU: 36
; NumVGPRsForWavesPerEU: 38
; NamedBarCnt: 0
; Occupancy: 16
; WaveLimiterHint : 1
; COMPUTE_PGM_RSRC2:SCRATCH_EN: 0
; COMPUTE_PGM_RSRC2:USER_SGPR: 2
; COMPUTE_PGM_RSRC2:TRAP_HANDLER: 0
; COMPUTE_PGM_RSRC2:TGID_X_EN: 1
; COMPUTE_PGM_RSRC2:TGID_Y_EN: 1
; COMPUTE_PGM_RSRC2:TGID_Z_EN: 1
; COMPUTE_PGM_RSRC2:TIDIG_COMP_CNT: 1
	.section	.text._ZL19rocblas_syr2_kernelILi128ELi8ELi1E19rocblas_complex_numIdEPKPKS1_PKPS1_EvbiT2_T3_lllSA_lllT4_llli,"axG",@progbits,_ZL19rocblas_syr2_kernelILi128ELi8ELi1E19rocblas_complex_numIdEPKPKS1_PKPS1_EvbiT2_T3_lllSA_lllT4_llli,comdat
	.globl	_ZL19rocblas_syr2_kernelILi128ELi8ELi1E19rocblas_complex_numIdEPKPKS1_PKPS1_EvbiT2_T3_lllSA_lllT4_llli ; -- Begin function _ZL19rocblas_syr2_kernelILi128ELi8ELi1E19rocblas_complex_numIdEPKPKS1_PKPS1_EvbiT2_T3_lllSA_lllT4_llli
	.p2align	8
	.type	_ZL19rocblas_syr2_kernelILi128ELi8ELi1E19rocblas_complex_numIdEPKPKS1_PKPS1_EvbiT2_T3_lllSA_lllT4_llli,@function
_ZL19rocblas_syr2_kernelILi128ELi8ELi1E19rocblas_complex_numIdEPKPKS1_PKPS1_EvbiT2_T3_lllSA_lllT4_llli: ; @_ZL19rocblas_syr2_kernelILi128ELi8ELi1E19rocblas_complex_numIdEPKPKS1_PKPS1_EvbiT2_T3_lllSA_lllT4_llli
; %bb.0:
	s_load_b64 s[2:3], s[0:1], 0x8c
	s_wait_kmcnt 0x0
	s_lshr_b32 s4, s2, 16
	s_and_b32 s2, s2, 0xffff
	s_and_b32 s3, s3, 0xffff
	s_mul_i32 s2, s4, s2
	s_delay_alu instid0(SALU_CYCLE_1) | instskip(NEXT) | instid1(SALU_CYCLE_1)
	s_mul_i32 s2, s2, s3
	s_cmp_lg_u32 s2, 0x400
	s_cbranch_scc1 .LBB15_10
; %bb.1:
	s_clause 0x1
	s_load_b256 s[4:11], s[0:1], 0x8
	s_load_b32 s20, s[0:1], 0x78
	s_bfe_u32 s2, ttmp6, 0x40014
	s_lshr_b32 s13, ttmp7, 16
	s_add_co_i32 s2, s2, 1
	s_bfe_u32 s15, ttmp6, 0x40008
	s_mul_i32 s14, s13, s2
	s_getreg_b32 s2, hwreg(HW_REG_IB_STS2, 6, 4)
	s_add_co_i32 s15, s15, s14
	s_cmp_eq_u32 s2, 0
	s_cselect_b32 s21, s13, s15
	s_wait_kmcnt 0x0
	v_cmp_eq_f64_e64 s3, s[4:5], 0
	v_cmp_eq_f64_e64 s12, s[6:7], 0
	s_and_b32 s3, s3, s12
	s_cmp_ge_u32 s21, s20
	s_cselect_b32 s12, -1, 0
	s_delay_alu instid0(SALU_CYCLE_1) | instskip(NEXT) | instid1(SALU_CYCLE_1)
	s_or_b32 s3, s3, s12
	s_and_b32 vcc_lo, exec_lo, s3
	s_cbranch_vccnz .LBB15_10
; %bb.2:
	s_clause 0x3
	s_load_b64 s[22:23], s[0:1], 0x0
	s_load_b64 s[16:17], s[0:1], 0x28
	;; [unrolled: 1-line block ×3, first 2 shown]
	s_load_b128 s[12:15], s[0:1], 0x58
	v_bfe_u32 v1, v0, 10, 10
	v_and_b32_e32 v0, 0x3ff, v0
	s_wait_kmcnt 0x0
	s_bitcmp1_b32 s22, 0
	s_cselect_b32 s3, -1, 0
	s_bfe_u32 s25, ttmp6, 0x40010
	s_bfe_u32 s28, ttmp6, 0x4000c
	s_and_b32 s24, ttmp7, 0xffff
	s_add_co_i32 s25, s25, 1
	s_add_co_i32 s28, s28, 1
	s_bfe_u32 s26, ttmp6, 0x40004
	s_and_b32 s27, ttmp6, 15
	s_xor_b32 s22, s3, -1
	s_mul_i32 s3, s24, s25
	s_mul_i32 s25, ttmp9, s28
	s_add_co_i32 s26, s26, s3
	s_add_co_i32 s27, s27, s25
	s_cmp_eq_u32 s2, 0
	s_cselect_b32 s2, s24, s26
	s_delay_alu instid0(SALU_CYCLE_1) | instskip(SKIP_1) | instid1(SALU_CYCLE_1)
	v_lshl_add_u32 v12, s2, 3, v1
	s_cselect_b32 s2, ttmp9, s27
	v_lshl_add_u32 v0, s2, 7, v0
	s_delay_alu instid0(VALU_DEP_2) | instskip(NEXT) | instid1(VALU_DEP_2)
	v_ashrrev_i32_e32 v13, 31, v12
	v_ashrrev_i32_e32 v1, 31, v0
	v_cmp_gt_i32_e32 vcc_lo, s23, v0
	s_delay_alu instid0(VALU_DEP_3)
	v_mul_u64_e32 v[2:3], s[18:19], v[12:13]
	v_mul_u64_e32 v[4:5], s[16:17], v[12:13]
	;; [unrolled: 1-line block ×5, first 2 shown]
	s_clause 0x1
	s_load_b64 s[24:25], s[0:1], 0x68
	s_load_b128 s[16:19], s[0:1], 0x38
	s_wait_xcnt 0x0
	v_cmp_le_i32_e64 s0, v12, v0
	v_cmp_gt_i32_e64 s1, s23, v12
	v_cmp_le_i32_e64 s2, v0, v12
	s_and_b32 s14, s0, vcc_lo
	s_and_b32 s15, s2, s1
	s_lshl_b64 s[2:3], s[10:11], 4
	s_wait_kmcnt 0x0
	s_lshl_b64 s[0:1], s[24:25], 4
	s_lshl_b64 s[10:11], s[18:19], 4
	s_branch .LBB15_4
.LBB15_3:                               ;   in Loop: Header=BB15_4 Depth=1
	s_wait_xcnt 0x0
	s_or_b32 exec_lo, exec_lo, s18
	s_add_co_i32 s21, s21, 0x10000
	s_delay_alu instid0(SALU_CYCLE_1)
	s_cmp_lt_u32 s21, s20
	s_cbranch_scc0 .LBB15_10
.LBB15_4:                               ; =>This Inner Loop Header: Depth=1
	s_mov_b32 s19, 0
	s_and_b32 vcc_lo, exec_lo, s22
	s_mov_b32 s18, -1
	s_cbranch_vccnz .LBB15_7
; %bb.5:                                ;   in Loop: Header=BB15_4 Depth=1
	s_and_not1_b32 vcc_lo, exec_lo, s18
	s_cbranch_vccz .LBB15_8
.LBB15_6:                               ;   in Loop: Header=BB15_4 Depth=1
	s_and_saveexec_b32 s18, s19
	s_cbranch_execz .LBB15_3
	s_branch .LBB15_9
.LBB15_7:                               ;   in Loop: Header=BB15_4 Depth=1
	s_and_b32 s19, s14, exec_lo
	s_cbranch_execnz .LBB15_6
.LBB15_8:                               ;   in Loop: Header=BB15_4 Depth=1
	s_and_not1_b32 s18, s19, exec_lo
	s_and_b32 s19, s15, exec_lo
	s_delay_alu instid0(SALU_CYCLE_1) | instskip(NEXT) | instid1(SALU_CYCLE_1)
	s_or_b32 s19, s18, s19
	s_and_saveexec_b32 s18, s19
	s_cbranch_execz .LBB15_3
.LBB15_9:                               ;   in Loop: Header=BB15_4 Depth=1
	s_load_b64 s[24:25], s[8:9], s21 offset:0x0 scale_offset
	s_load_b64 s[26:27], s[16:17], s21 offset:0x0 scale_offset
	s_wait_kmcnt 0x0
	s_add_nc_u64 s[24:25], s[24:25], s[2:3]
	s_add_nc_u64 s[26:27], s[26:27], s[10:11]
	v_lshl_add_u64 v[20:21], v[8:9], 4, s[24:25]
	v_lshl_add_u64 v[22:23], v[10:11], 4, s[26:27]
	;; [unrolled: 1-line block ×4, first 2 shown]
	flat_load_b128 v[12:15], v[20:21]
	s_clause 0x1
	flat_load_b128 v[16:19], v[22:23]
	flat_load_b128 v[20:23], v[28:29]
	;; [unrolled: 1-line block ×3, first 2 shown]
	s_load_b64 s[24:25], s[12:13], s21 offset:0x0 scale_offset
	s_wait_kmcnt 0x0
	s_add_nc_u64 s[24:25], s[24:25], s[0:1]
	s_delay_alu instid0(SALU_CYCLE_1) | instskip(NEXT) | instid1(VALU_DEP_1)
	v_lshl_add_u64 v[28:29], v[6:7], 4, s[24:25]
	v_lshl_add_u64 v[32:33], v[0:1], 4, v[28:29]
	flat_load_b128 v[28:31], v[32:33]
	s_wait_loadcnt_dscnt 0x404
	v_mul_f64_e32 v[34:35], s[4:5], v[14:15]
	s_wait_loadcnt_dscnt 0x303
	v_mul_f64_e32 v[36:37], s[4:5], v[18:19]
	v_mul_f64_e32 v[14:15], s[6:7], v[14:15]
	;; [unrolled: 1-line block ×3, first 2 shown]
	s_delay_alu instid0(VALU_DEP_4) | instskip(NEXT) | instid1(VALU_DEP_4)
	v_fmac_f64_e32 v[34:35], s[6:7], v[12:13]
	v_fmac_f64_e32 v[36:37], s[6:7], v[16:17]
	s_delay_alu instid0(VALU_DEP_4) | instskip(NEXT) | instid1(VALU_DEP_4)
	v_fma_f64 v[12:13], s[4:5], v[12:13], -v[14:15]
	v_fma_f64 v[14:15], s[4:5], v[16:17], -v[18:19]
	s_wait_loadcnt_dscnt 0x202
	s_delay_alu instid0(VALU_DEP_4) | instskip(SKIP_4) | instid1(VALU_DEP_4)
	v_mul_f64_e32 v[16:17], v[22:23], v[34:35]
	v_mul_f64_e32 v[18:19], v[20:21], v[34:35]
	s_wait_loadcnt_dscnt 0x101
	v_mul_f64_e32 v[34:35], v[26:27], v[36:37]
	v_mul_f64_e32 v[36:37], v[24:25], v[36:37]
	v_fma_f64 v[16:17], v[20:21], v[12:13], -v[16:17]
	s_delay_alu instid0(VALU_DEP_4) | instskip(NEXT) | instid1(VALU_DEP_4)
	v_fmac_f64_e32 v[18:19], v[22:23], v[12:13]
	v_fma_f64 v[12:13], v[24:25], v[14:15], -v[34:35]
	s_delay_alu instid0(VALU_DEP_4) | instskip(NEXT) | instid1(VALU_DEP_2)
	v_fmac_f64_e32 v[36:37], v[26:27], v[14:15]
	v_add_f64_e32 v[12:13], v[16:17], v[12:13]
	s_delay_alu instid0(VALU_DEP_2) | instskip(SKIP_1) | instid1(VALU_DEP_2)
	v_add_f64_e32 v[14:15], v[18:19], v[36:37]
	s_wait_loadcnt_dscnt 0x0
	v_add_f64_e32 v[12:13], v[28:29], v[12:13]
	s_delay_alu instid0(VALU_DEP_2)
	v_add_f64_e32 v[14:15], v[30:31], v[14:15]
	flat_store_b128 v[32:33], v[12:15]
	s_branch .LBB15_3
.LBB15_10:
	s_endpgm
	.section	.rodata,"a",@progbits
	.p2align	6, 0x0
	.amdhsa_kernel _ZL19rocblas_syr2_kernelILi128ELi8ELi1E19rocblas_complex_numIdEPKPKS1_PKPS1_EvbiT2_T3_lllSA_lllT4_llli
		.amdhsa_group_segment_fixed_size 0
		.amdhsa_private_segment_fixed_size 0
		.amdhsa_kernarg_size 384
		.amdhsa_user_sgpr_count 2
		.amdhsa_user_sgpr_dispatch_ptr 0
		.amdhsa_user_sgpr_queue_ptr 0
		.amdhsa_user_sgpr_kernarg_segment_ptr 1
		.amdhsa_user_sgpr_dispatch_id 0
		.amdhsa_user_sgpr_kernarg_preload_length 0
		.amdhsa_user_sgpr_kernarg_preload_offset 0
		.amdhsa_user_sgpr_private_segment_size 0
		.amdhsa_wavefront_size32 1
		.amdhsa_uses_dynamic_stack 0
		.amdhsa_enable_private_segment 0
		.amdhsa_system_sgpr_workgroup_id_x 1
		.amdhsa_system_sgpr_workgroup_id_y 1
		.amdhsa_system_sgpr_workgroup_id_z 1
		.amdhsa_system_sgpr_workgroup_info 0
		.amdhsa_system_vgpr_workitem_id 1
		.amdhsa_next_free_vgpr 38
		.amdhsa_next_free_sgpr 29
		.amdhsa_named_barrier_count 0
		.amdhsa_reserve_vcc 1
		.amdhsa_float_round_mode_32 0
		.amdhsa_float_round_mode_16_64 0
		.amdhsa_float_denorm_mode_32 3
		.amdhsa_float_denorm_mode_16_64 3
		.amdhsa_fp16_overflow 0
		.amdhsa_memory_ordered 1
		.amdhsa_forward_progress 1
		.amdhsa_inst_pref_size 7
		.amdhsa_round_robin_scheduling 0
		.amdhsa_exception_fp_ieee_invalid_op 0
		.amdhsa_exception_fp_denorm_src 0
		.amdhsa_exception_fp_ieee_div_zero 0
		.amdhsa_exception_fp_ieee_overflow 0
		.amdhsa_exception_fp_ieee_underflow 0
		.amdhsa_exception_fp_ieee_inexact 0
		.amdhsa_exception_int_div_zero 0
	.end_amdhsa_kernel
	.section	.text._ZL19rocblas_syr2_kernelILi128ELi8ELi1E19rocblas_complex_numIdEPKPKS1_PKPS1_EvbiT2_T3_lllSA_lllT4_llli,"axG",@progbits,_ZL19rocblas_syr2_kernelILi128ELi8ELi1E19rocblas_complex_numIdEPKPKS1_PKPS1_EvbiT2_T3_lllSA_lllT4_llli,comdat
.Lfunc_end15:
	.size	_ZL19rocblas_syr2_kernelILi128ELi8ELi1E19rocblas_complex_numIdEPKPKS1_PKPS1_EvbiT2_T3_lllSA_lllT4_llli, .Lfunc_end15-_ZL19rocblas_syr2_kernelILi128ELi8ELi1E19rocblas_complex_numIdEPKPKS1_PKPS1_EvbiT2_T3_lllSA_lllT4_llli
                                        ; -- End function
	.set _ZL19rocblas_syr2_kernelILi128ELi8ELi1E19rocblas_complex_numIdEPKPKS1_PKPS1_EvbiT2_T3_lllSA_lllT4_llli.num_vgpr, 38
	.set _ZL19rocblas_syr2_kernelILi128ELi8ELi1E19rocblas_complex_numIdEPKPKS1_PKPS1_EvbiT2_T3_lllSA_lllT4_llli.num_agpr, 0
	.set _ZL19rocblas_syr2_kernelILi128ELi8ELi1E19rocblas_complex_numIdEPKPKS1_PKPS1_EvbiT2_T3_lllSA_lllT4_llli.numbered_sgpr, 29
	.set _ZL19rocblas_syr2_kernelILi128ELi8ELi1E19rocblas_complex_numIdEPKPKS1_PKPS1_EvbiT2_T3_lllSA_lllT4_llli.num_named_barrier, 0
	.set _ZL19rocblas_syr2_kernelILi128ELi8ELi1E19rocblas_complex_numIdEPKPKS1_PKPS1_EvbiT2_T3_lllSA_lllT4_llli.private_seg_size, 0
	.set _ZL19rocblas_syr2_kernelILi128ELi8ELi1E19rocblas_complex_numIdEPKPKS1_PKPS1_EvbiT2_T3_lllSA_lllT4_llli.uses_vcc, 1
	.set _ZL19rocblas_syr2_kernelILi128ELi8ELi1E19rocblas_complex_numIdEPKPKS1_PKPS1_EvbiT2_T3_lllSA_lllT4_llli.uses_flat_scratch, 1
	.set _ZL19rocblas_syr2_kernelILi128ELi8ELi1E19rocblas_complex_numIdEPKPKS1_PKPS1_EvbiT2_T3_lllSA_lllT4_llli.has_dyn_sized_stack, 0
	.set _ZL19rocblas_syr2_kernelILi128ELi8ELi1E19rocblas_complex_numIdEPKPKS1_PKPS1_EvbiT2_T3_lllSA_lllT4_llli.has_recursion, 0
	.set _ZL19rocblas_syr2_kernelILi128ELi8ELi1E19rocblas_complex_numIdEPKPKS1_PKPS1_EvbiT2_T3_lllSA_lllT4_llli.has_indirect_call, 0
	.section	.AMDGPU.csdata,"",@progbits
; Kernel info:
; codeLenInByte = 864
; TotalNumSgprs: 31
; NumVgprs: 38
; ScratchSize: 0
; MemoryBound: 0
; FloatMode: 240
; IeeeMode: 1
; LDSByteSize: 0 bytes/workgroup (compile time only)
; SGPRBlocks: 0
; VGPRBlocks: 2
; NumSGPRsForWavesPerEU: 31
; NumVGPRsForWavesPerEU: 38
; NamedBarCnt: 0
; Occupancy: 16
; WaveLimiterHint : 1
; COMPUTE_PGM_RSRC2:SCRATCH_EN: 0
; COMPUTE_PGM_RSRC2:USER_SGPR: 2
; COMPUTE_PGM_RSRC2:TRAP_HANDLER: 0
; COMPUTE_PGM_RSRC2:TGID_X_EN: 1
; COMPUTE_PGM_RSRC2:TGID_Y_EN: 1
; COMPUTE_PGM_RSRC2:TGID_Z_EN: 1
; COMPUTE_PGM_RSRC2:TIDIG_COMP_CNT: 1
	.section	.AMDGPU.gpr_maximums,"",@progbits
	.set amdgpu.max_num_vgpr, 0
	.set amdgpu.max_num_agpr, 0
	.set amdgpu.max_num_sgpr, 0
	.section	.AMDGPU.csdata,"",@progbits
	.type	__hip_cuid_fc64ab46facb8075,@object ; @__hip_cuid_fc64ab46facb8075
	.section	.bss,"aw",@nobits
	.globl	__hip_cuid_fc64ab46facb8075
__hip_cuid_fc64ab46facb8075:
	.byte	0                               ; 0x0
	.size	__hip_cuid_fc64ab46facb8075, 1

	.ident	"AMD clang version 22.0.0git (https://github.com/RadeonOpenCompute/llvm-project roc-7.2.4 26084 f58b06dce1f9c15707c5f808fd002e18c2accf7e)"
	.section	".note.GNU-stack","",@progbits
	.addrsig
	.addrsig_sym __hip_cuid_fc64ab46facb8075
	.amdgpu_metadata
---
amdhsa.kernels:
  - .args:
      - .offset:         0
        .size:           1
        .value_kind:     by_value
      - .offset:         4
        .size:           4
        .value_kind:     by_value
      - .address_space:  global
        .offset:         8
        .size:           8
        .value_kind:     global_buffer
      - .address_space:  global
        .offset:         16
        .size:           8
        .value_kind:     global_buffer
      - .offset:         24
        .size:           8
        .value_kind:     by_value
      - .offset:         32
        .size:           8
        .value_kind:     by_value
      - .offset:         40
        .size:           8
        .value_kind:     by_value
      - .address_space:  global
        .offset:         48
        .size:           8
        .value_kind:     global_buffer
      - .offset:         56
        .size:           8
        .value_kind:     by_value
      - .offset:         64
        .size:           8
        .value_kind:     by_value
      - .offset:         72
        .size:           8
        .value_kind:     by_value
      - .address_space:  global
        .offset:         80
        .size:           8
        .value_kind:     global_buffer
      - .offset:         88
        .size:           8
        .value_kind:     by_value
      - .offset:         96
        .size:           8
        .value_kind:     by_value
      - .offset:         104
        .size:           8
        .value_kind:     by_value
      - .offset:         112
        .size:           4
        .value_kind:     by_value
      - .offset:         120
        .size:           4
        .value_kind:     hidden_block_count_x
      - .offset:         124
        .size:           4
        .value_kind:     hidden_block_count_y
      - .offset:         128
        .size:           4
        .value_kind:     hidden_block_count_z
      - .offset:         132
        .size:           2
        .value_kind:     hidden_group_size_x
      - .offset:         134
        .size:           2
        .value_kind:     hidden_group_size_y
      - .offset:         136
        .size:           2
        .value_kind:     hidden_group_size_z
      - .offset:         138
        .size:           2
        .value_kind:     hidden_remainder_x
      - .offset:         140
        .size:           2
        .value_kind:     hidden_remainder_y
      - .offset:         142
        .size:           2
        .value_kind:     hidden_remainder_z
      - .offset:         160
        .size:           8
        .value_kind:     hidden_global_offset_x
      - .offset:         168
        .size:           8
        .value_kind:     hidden_global_offset_y
      - .offset:         176
        .size:           8
        .value_kind:     hidden_global_offset_z
      - .offset:         184
        .size:           2
        .value_kind:     hidden_grid_dims
    .group_segment_fixed_size: 0
    .kernarg_segment_align: 8
    .kernarg_segment_size: 376
    .language:       OpenCL C
    .language_version:
      - 2
      - 0
    .max_flat_workgroup_size: 1024
    .name:           _ZL19rocblas_syr2_kernelILi128ELi8ELi2EPKfS1_PfEvbiT2_T3_lllS4_lllT4_llli
    .private_segment_fixed_size: 0
    .sgpr_count:     40
    .sgpr_spill_count: 0
    .symbol:         _ZL19rocblas_syr2_kernelILi128ELi8ELi2EPKfS1_PfEvbiT2_T3_lllS4_lllT4_llli.kd
    .uniform_work_group_size: 1
    .uses_dynamic_stack: false
    .vgpr_count:     31
    .vgpr_spill_count: 0
    .wavefront_size: 32
  - .args:
      - .offset:         0
        .size:           1
        .value_kind:     by_value
      - .offset:         4
        .size:           4
        .value_kind:     by_value
      - .offset:         8
        .size:           4
        .value_kind:     by_value
      - .address_space:  global
        .offset:         16
        .size:           8
        .value_kind:     global_buffer
      - .offset:         24
        .size:           8
        .value_kind:     by_value
      - .offset:         32
        .size:           8
        .value_kind:     by_value
      - .offset:         40
        .size:           8
        .value_kind:     by_value
      - .address_space:  global
        .offset:         48
        .size:           8
        .value_kind:     global_buffer
      - .offset:         56
        .size:           8
        .value_kind:     by_value
      - .offset:         64
        .size:           8
        .value_kind:     by_value
      - .offset:         72
        .size:           8
        .value_kind:     by_value
      - .address_space:  global
        .offset:         80
        .size:           8
        .value_kind:     global_buffer
      - .offset:         88
        .size:           8
        .value_kind:     by_value
      - .offset:         96
        .size:           8
        .value_kind:     by_value
      - .offset:         104
        .size:           8
        .value_kind:     by_value
      - .offset:         112
        .size:           4
        .value_kind:     by_value
      - .offset:         120
        .size:           4
        .value_kind:     hidden_block_count_x
      - .offset:         124
        .size:           4
        .value_kind:     hidden_block_count_y
      - .offset:         128
        .size:           4
        .value_kind:     hidden_block_count_z
      - .offset:         132
        .size:           2
        .value_kind:     hidden_group_size_x
      - .offset:         134
        .size:           2
        .value_kind:     hidden_group_size_y
      - .offset:         136
        .size:           2
        .value_kind:     hidden_group_size_z
      - .offset:         138
        .size:           2
        .value_kind:     hidden_remainder_x
      - .offset:         140
        .size:           2
        .value_kind:     hidden_remainder_y
      - .offset:         142
        .size:           2
        .value_kind:     hidden_remainder_z
      - .offset:         160
        .size:           8
        .value_kind:     hidden_global_offset_x
      - .offset:         168
        .size:           8
        .value_kind:     hidden_global_offset_y
      - .offset:         176
        .size:           8
        .value_kind:     hidden_global_offset_z
      - .offset:         184
        .size:           2
        .value_kind:     hidden_grid_dims
    .group_segment_fixed_size: 0
    .kernarg_segment_align: 8
    .kernarg_segment_size: 376
    .language:       OpenCL C
    .language_version:
      - 2
      - 0
    .max_flat_workgroup_size: 1024
    .name:           _ZL19rocblas_syr2_kernelILi128ELi8ELi2EfPKfPfEvbiT2_T3_lllS4_lllT4_llli
    .private_segment_fixed_size: 0
    .sgpr_count:     40
    .sgpr_spill_count: 0
    .symbol:         _ZL19rocblas_syr2_kernelILi128ELi8ELi2EfPKfPfEvbiT2_T3_lllS4_lllT4_llli.kd
    .uniform_work_group_size: 1
    .uses_dynamic_stack: false
    .vgpr_count:     31
    .vgpr_spill_count: 0
    .wavefront_size: 32
  - .args:
      - .offset:         0
        .size:           1
        .value_kind:     by_value
      - .offset:         4
        .size:           4
        .value_kind:     by_value
      - .address_space:  global
        .offset:         8
        .size:           8
        .value_kind:     global_buffer
      - .address_space:  global
        .offset:         16
        .size:           8
        .value_kind:     global_buffer
      - .offset:         24
        .size:           8
        .value_kind:     by_value
      - .offset:         32
        .size:           8
        .value_kind:     by_value
      - .offset:         40
        .size:           8
        .value_kind:     by_value
      - .address_space:  global
        .offset:         48
        .size:           8
        .value_kind:     global_buffer
      - .offset:         56
        .size:           8
        .value_kind:     by_value
      - .offset:         64
        .size:           8
        .value_kind:     by_value
      - .offset:         72
        .size:           8
        .value_kind:     by_value
      - .address_space:  global
        .offset:         80
        .size:           8
        .value_kind:     global_buffer
      - .offset:         88
        .size:           8
        .value_kind:     by_value
      - .offset:         96
        .size:           8
        .value_kind:     by_value
      - .offset:         104
        .size:           8
        .value_kind:     by_value
      - .offset:         112
        .size:           4
        .value_kind:     by_value
      - .offset:         120
        .size:           4
        .value_kind:     hidden_block_count_x
      - .offset:         124
        .size:           4
        .value_kind:     hidden_block_count_y
      - .offset:         128
        .size:           4
        .value_kind:     hidden_block_count_z
      - .offset:         132
        .size:           2
        .value_kind:     hidden_group_size_x
      - .offset:         134
        .size:           2
        .value_kind:     hidden_group_size_y
      - .offset:         136
        .size:           2
        .value_kind:     hidden_group_size_z
      - .offset:         138
        .size:           2
        .value_kind:     hidden_remainder_x
      - .offset:         140
        .size:           2
        .value_kind:     hidden_remainder_y
      - .offset:         142
        .size:           2
        .value_kind:     hidden_remainder_z
      - .offset:         160
        .size:           8
        .value_kind:     hidden_global_offset_x
      - .offset:         168
        .size:           8
        .value_kind:     hidden_global_offset_y
      - .offset:         176
        .size:           8
        .value_kind:     hidden_global_offset_z
      - .offset:         184
        .size:           2
        .value_kind:     hidden_grid_dims
    .group_segment_fixed_size: 0
    .kernarg_segment_align: 8
    .kernarg_segment_size: 376
    .language:       OpenCL C
    .language_version:
      - 2
      - 0
    .max_flat_workgroup_size: 1024
    .name:           _ZL19rocblas_syr2_kernelILi128ELi8ELi1EPKdS1_PdEvbiT2_T3_lllS4_lllT4_llli
    .private_segment_fixed_size: 0
    .sgpr_count:     41
    .sgpr_spill_count: 0
    .symbol:         _ZL19rocblas_syr2_kernelILi128ELi8ELi1EPKdS1_PdEvbiT2_T3_lllS4_lllT4_llli.kd
    .uniform_work_group_size: 1
    .uses_dynamic_stack: false
    .vgpr_count:     22
    .vgpr_spill_count: 0
    .wavefront_size: 32
  - .args:
      - .offset:         0
        .size:           1
        .value_kind:     by_value
      - .offset:         4
        .size:           4
        .value_kind:     by_value
      - .offset:         8
        .size:           8
        .value_kind:     by_value
      - .address_space:  global
        .offset:         16
        .size:           8
        .value_kind:     global_buffer
      - .offset:         24
        .size:           8
        .value_kind:     by_value
      - .offset:         32
        .size:           8
        .value_kind:     by_value
      - .offset:         40
        .size:           8
        .value_kind:     by_value
      - .address_space:  global
        .offset:         48
        .size:           8
        .value_kind:     global_buffer
      - .offset:         56
        .size:           8
        .value_kind:     by_value
      - .offset:         64
        .size:           8
        .value_kind:     by_value
      - .offset:         72
        .size:           8
        .value_kind:     by_value
      - .address_space:  global
        .offset:         80
        .size:           8
        .value_kind:     global_buffer
      - .offset:         88
        .size:           8
        .value_kind:     by_value
      - .offset:         96
        .size:           8
        .value_kind:     by_value
      - .offset:         104
        .size:           8
        .value_kind:     by_value
      - .offset:         112
        .size:           4
        .value_kind:     by_value
      - .offset:         120
        .size:           4
        .value_kind:     hidden_block_count_x
      - .offset:         124
        .size:           4
        .value_kind:     hidden_block_count_y
      - .offset:         128
        .size:           4
        .value_kind:     hidden_block_count_z
      - .offset:         132
        .size:           2
        .value_kind:     hidden_group_size_x
      - .offset:         134
        .size:           2
        .value_kind:     hidden_group_size_y
      - .offset:         136
        .size:           2
        .value_kind:     hidden_group_size_z
      - .offset:         138
        .size:           2
        .value_kind:     hidden_remainder_x
      - .offset:         140
        .size:           2
        .value_kind:     hidden_remainder_y
      - .offset:         142
        .size:           2
        .value_kind:     hidden_remainder_z
      - .offset:         160
        .size:           8
        .value_kind:     hidden_global_offset_x
      - .offset:         168
        .size:           8
        .value_kind:     hidden_global_offset_y
      - .offset:         176
        .size:           8
        .value_kind:     hidden_global_offset_z
      - .offset:         184
        .size:           2
        .value_kind:     hidden_grid_dims
    .group_segment_fixed_size: 0
    .kernarg_segment_align: 8
    .kernarg_segment_size: 376
    .language:       OpenCL C
    .language_version:
      - 2
      - 0
    .max_flat_workgroup_size: 1024
    .name:           _ZL19rocblas_syr2_kernelILi128ELi8ELi1EdPKdPdEvbiT2_T3_lllS4_lllT4_llli
    .private_segment_fixed_size: 0
    .sgpr_count:     41
    .sgpr_spill_count: 0
    .symbol:         _ZL19rocblas_syr2_kernelILi128ELi8ELi1EdPKdPdEvbiT2_T3_lllS4_lllT4_llli.kd
    .uniform_work_group_size: 1
    .uses_dynamic_stack: false
    .vgpr_count:     22
    .vgpr_spill_count: 0
    .wavefront_size: 32
  - .args:
      - .offset:         0
        .size:           1
        .value_kind:     by_value
      - .offset:         4
        .size:           4
        .value_kind:     by_value
      - .address_space:  global
        .offset:         8
        .size:           8
        .value_kind:     global_buffer
      - .address_space:  global
        .offset:         16
        .size:           8
        .value_kind:     global_buffer
      - .offset:         24
        .size:           8
        .value_kind:     by_value
      - .offset:         32
        .size:           8
        .value_kind:     by_value
      - .offset:         40
        .size:           8
        .value_kind:     by_value
      - .address_space:  global
        .offset:         48
        .size:           8
        .value_kind:     global_buffer
      - .offset:         56
        .size:           8
        .value_kind:     by_value
      - .offset:         64
        .size:           8
        .value_kind:     by_value
      - .offset:         72
        .size:           8
        .value_kind:     by_value
      - .address_space:  global
        .offset:         80
        .size:           8
        .value_kind:     global_buffer
      - .offset:         88
        .size:           8
        .value_kind:     by_value
      - .offset:         96
        .size:           8
        .value_kind:     by_value
      - .offset:         104
        .size:           8
        .value_kind:     by_value
      - .offset:         112
        .size:           4
        .value_kind:     by_value
      - .offset:         120
        .size:           4
        .value_kind:     hidden_block_count_x
      - .offset:         124
        .size:           4
        .value_kind:     hidden_block_count_y
      - .offset:         128
        .size:           4
        .value_kind:     hidden_block_count_z
      - .offset:         132
        .size:           2
        .value_kind:     hidden_group_size_x
      - .offset:         134
        .size:           2
        .value_kind:     hidden_group_size_y
      - .offset:         136
        .size:           2
        .value_kind:     hidden_group_size_z
      - .offset:         138
        .size:           2
        .value_kind:     hidden_remainder_x
      - .offset:         140
        .size:           2
        .value_kind:     hidden_remainder_y
      - .offset:         142
        .size:           2
        .value_kind:     hidden_remainder_z
      - .offset:         160
        .size:           8
        .value_kind:     hidden_global_offset_x
      - .offset:         168
        .size:           8
        .value_kind:     hidden_global_offset_y
      - .offset:         176
        .size:           8
        .value_kind:     hidden_global_offset_z
      - .offset:         184
        .size:           2
        .value_kind:     hidden_grid_dims
    .group_segment_fixed_size: 0
    .kernarg_segment_align: 8
    .kernarg_segment_size: 376
    .language:       OpenCL C
    .language_version:
      - 2
      - 0
    .max_flat_workgroup_size: 1024
    .name:           _ZL19rocblas_syr2_kernelILi128ELi8ELi1EPK19rocblas_complex_numIfES3_PS1_EvbiT2_T3_lllS6_lllT4_llli
    .private_segment_fixed_size: 0
    .sgpr_count:     40
    .sgpr_spill_count: 0
    .symbol:         _ZL19rocblas_syr2_kernelILi128ELi8ELi1EPK19rocblas_complex_numIfES3_PS1_EvbiT2_T3_lllS6_lllT4_llli.kd
    .uniform_work_group_size: 1
    .uses_dynamic_stack: false
    .vgpr_count:     30
    .vgpr_spill_count: 0
    .wavefront_size: 32
  - .args:
      - .offset:         0
        .size:           1
        .value_kind:     by_value
      - .offset:         4
        .size:           4
        .value_kind:     by_value
      - .offset:         8
        .size:           8
        .value_kind:     by_value
      - .address_space:  global
        .offset:         16
        .size:           8
        .value_kind:     global_buffer
      - .offset:         24
        .size:           8
        .value_kind:     by_value
      - .offset:         32
        .size:           8
        .value_kind:     by_value
      - .offset:         40
        .size:           8
        .value_kind:     by_value
      - .address_space:  global
        .offset:         48
        .size:           8
        .value_kind:     global_buffer
      - .offset:         56
        .size:           8
        .value_kind:     by_value
      - .offset:         64
        .size:           8
        .value_kind:     by_value
      - .offset:         72
        .size:           8
        .value_kind:     by_value
      - .address_space:  global
        .offset:         80
        .size:           8
        .value_kind:     global_buffer
      - .offset:         88
        .size:           8
        .value_kind:     by_value
      - .offset:         96
        .size:           8
        .value_kind:     by_value
      - .offset:         104
        .size:           8
        .value_kind:     by_value
      - .offset:         112
        .size:           4
        .value_kind:     by_value
      - .offset:         120
        .size:           4
        .value_kind:     hidden_block_count_x
      - .offset:         124
        .size:           4
        .value_kind:     hidden_block_count_y
      - .offset:         128
        .size:           4
        .value_kind:     hidden_block_count_z
      - .offset:         132
        .size:           2
        .value_kind:     hidden_group_size_x
      - .offset:         134
        .size:           2
        .value_kind:     hidden_group_size_y
      - .offset:         136
        .size:           2
        .value_kind:     hidden_group_size_z
      - .offset:         138
        .size:           2
        .value_kind:     hidden_remainder_x
      - .offset:         140
        .size:           2
        .value_kind:     hidden_remainder_y
      - .offset:         142
        .size:           2
        .value_kind:     hidden_remainder_z
      - .offset:         160
        .size:           8
        .value_kind:     hidden_global_offset_x
      - .offset:         168
        .size:           8
        .value_kind:     hidden_global_offset_y
      - .offset:         176
        .size:           8
        .value_kind:     hidden_global_offset_z
      - .offset:         184
        .size:           2
        .value_kind:     hidden_grid_dims
    .group_segment_fixed_size: 0
    .kernarg_segment_align: 8
    .kernarg_segment_size: 376
    .language:       OpenCL C
    .language_version:
      - 2
      - 0
    .max_flat_workgroup_size: 1024
    .name:           _ZL19rocblas_syr2_kernelILi128ELi8ELi1E19rocblas_complex_numIfEPKS1_PS1_EvbiT2_T3_lllS6_lllT4_llli
    .private_segment_fixed_size: 0
    .sgpr_count:     39
    .sgpr_spill_count: 0
    .symbol:         _ZL19rocblas_syr2_kernelILi128ELi8ELi1E19rocblas_complex_numIfEPKS1_PS1_EvbiT2_T3_lllS6_lllT4_llli.kd
    .uniform_work_group_size: 1
    .uses_dynamic_stack: false
    .vgpr_count:     30
    .vgpr_spill_count: 0
    .wavefront_size: 32
  - .args:
      - .offset:         0
        .size:           1
        .value_kind:     by_value
      - .offset:         4
        .size:           4
        .value_kind:     by_value
      - .address_space:  global
        .offset:         8
        .size:           8
        .value_kind:     global_buffer
      - .address_space:  global
        .offset:         16
        .size:           8
        .value_kind:     global_buffer
      - .offset:         24
        .size:           8
        .value_kind:     by_value
      - .offset:         32
        .size:           8
        .value_kind:     by_value
      - .offset:         40
        .size:           8
        .value_kind:     by_value
      - .address_space:  global
        .offset:         48
        .size:           8
        .value_kind:     global_buffer
      - .offset:         56
        .size:           8
        .value_kind:     by_value
      - .offset:         64
        .size:           8
        .value_kind:     by_value
      - .offset:         72
        .size:           8
        .value_kind:     by_value
      - .address_space:  global
        .offset:         80
        .size:           8
        .value_kind:     global_buffer
      - .offset:         88
        .size:           8
        .value_kind:     by_value
      - .offset:         96
        .size:           8
        .value_kind:     by_value
      - .offset:         104
        .size:           8
        .value_kind:     by_value
      - .offset:         112
        .size:           4
        .value_kind:     by_value
      - .offset:         120
        .size:           4
        .value_kind:     hidden_block_count_x
      - .offset:         124
        .size:           4
        .value_kind:     hidden_block_count_y
      - .offset:         128
        .size:           4
        .value_kind:     hidden_block_count_z
      - .offset:         132
        .size:           2
        .value_kind:     hidden_group_size_x
      - .offset:         134
        .size:           2
        .value_kind:     hidden_group_size_y
      - .offset:         136
        .size:           2
        .value_kind:     hidden_group_size_z
      - .offset:         138
        .size:           2
        .value_kind:     hidden_remainder_x
      - .offset:         140
        .size:           2
        .value_kind:     hidden_remainder_y
      - .offset:         142
        .size:           2
        .value_kind:     hidden_remainder_z
      - .offset:         160
        .size:           8
        .value_kind:     hidden_global_offset_x
      - .offset:         168
        .size:           8
        .value_kind:     hidden_global_offset_y
      - .offset:         176
        .size:           8
        .value_kind:     hidden_global_offset_z
      - .offset:         184
        .size:           2
        .value_kind:     hidden_grid_dims
    .group_segment_fixed_size: 0
    .kernarg_segment_align: 8
    .kernarg_segment_size: 376
    .language:       OpenCL C
    .language_version:
      - 2
      - 0
    .max_flat_workgroup_size: 1024
    .name:           _ZL19rocblas_syr2_kernelILi128ELi8ELi1EPK19rocblas_complex_numIdES3_PS1_EvbiT2_T3_lllS6_lllT4_llli
    .private_segment_fixed_size: 0
    .sgpr_count:     43
    .sgpr_spill_count: 0
    .symbol:         _ZL19rocblas_syr2_kernelILi128ELi8ELi1EPK19rocblas_complex_numIdES3_PS1_EvbiT2_T3_lllS6_lllT4_llli.kd
    .uniform_work_group_size: 1
    .uses_dynamic_stack: false
    .vgpr_count:     36
    .vgpr_spill_count: 0
    .wavefront_size: 32
  - .args:
      - .offset:         0
        .size:           1
        .value_kind:     by_value
      - .offset:         4
        .size:           4
        .value_kind:     by_value
      - .offset:         8
        .size:           16
        .value_kind:     by_value
      - .address_space:  global
        .offset:         24
        .size:           8
        .value_kind:     global_buffer
      - .offset:         32
        .size:           8
        .value_kind:     by_value
      - .offset:         40
        .size:           8
        .value_kind:     by_value
      - .offset:         48
        .size:           8
        .value_kind:     by_value
      - .address_space:  global
        .offset:         56
        .size:           8
        .value_kind:     global_buffer
      - .offset:         64
        .size:           8
        .value_kind:     by_value
      - .offset:         72
        .size:           8
        .value_kind:     by_value
      - .offset:         80
        .size:           8
        .value_kind:     by_value
      - .address_space:  global
        .offset:         88
        .size:           8
        .value_kind:     global_buffer
      - .offset:         96
        .size:           8
        .value_kind:     by_value
      - .offset:         104
        .size:           8
        .value_kind:     by_value
      - .offset:         112
        .size:           8
        .value_kind:     by_value
      - .offset:         120
        .size:           4
        .value_kind:     by_value
      - .offset:         128
        .size:           4
        .value_kind:     hidden_block_count_x
      - .offset:         132
        .size:           4
        .value_kind:     hidden_block_count_y
      - .offset:         136
        .size:           4
        .value_kind:     hidden_block_count_z
      - .offset:         140
        .size:           2
        .value_kind:     hidden_group_size_x
      - .offset:         142
        .size:           2
        .value_kind:     hidden_group_size_y
      - .offset:         144
        .size:           2
        .value_kind:     hidden_group_size_z
      - .offset:         146
        .size:           2
        .value_kind:     hidden_remainder_x
      - .offset:         148
        .size:           2
        .value_kind:     hidden_remainder_y
      - .offset:         150
        .size:           2
        .value_kind:     hidden_remainder_z
      - .offset:         168
        .size:           8
        .value_kind:     hidden_global_offset_x
      - .offset:         176
        .size:           8
        .value_kind:     hidden_global_offset_y
      - .offset:         184
        .size:           8
        .value_kind:     hidden_global_offset_z
      - .offset:         192
        .size:           2
        .value_kind:     hidden_grid_dims
    .group_segment_fixed_size: 0
    .kernarg_segment_align: 8
    .kernarg_segment_size: 384
    .language:       OpenCL C
    .language_version:
      - 2
      - 0
    .max_flat_workgroup_size: 1024
    .name:           _ZL19rocblas_syr2_kernelILi128ELi8ELi1E19rocblas_complex_numIdEPKS1_PS1_EvbiT2_T3_lllS6_lllT4_llli
    .private_segment_fixed_size: 0
    .sgpr_count:     42
    .sgpr_spill_count: 0
    .symbol:         _ZL19rocblas_syr2_kernelILi128ELi8ELi1E19rocblas_complex_numIdEPKS1_PS1_EvbiT2_T3_lllS6_lllT4_llli.kd
    .uniform_work_group_size: 1
    .uses_dynamic_stack: false
    .vgpr_count:     36
    .vgpr_spill_count: 0
    .wavefront_size: 32
  - .args:
      - .offset:         0
        .size:           1
        .value_kind:     by_value
      - .offset:         4
        .size:           4
        .value_kind:     by_value
      - .address_space:  global
        .offset:         8
        .size:           8
        .value_kind:     global_buffer
      - .address_space:  global
        .offset:         16
        .size:           8
        .value_kind:     global_buffer
      - .offset:         24
        .size:           8
        .value_kind:     by_value
      - .offset:         32
        .size:           8
        .value_kind:     by_value
      - .offset:         40
        .size:           8
        .value_kind:     by_value
      - .address_space:  global
        .offset:         48
        .size:           8
        .value_kind:     global_buffer
      - .offset:         56
        .size:           8
        .value_kind:     by_value
      - .offset:         64
        .size:           8
        .value_kind:     by_value
      - .offset:         72
        .size:           8
        .value_kind:     by_value
      - .address_space:  global
        .offset:         80
        .size:           8
        .value_kind:     global_buffer
      - .offset:         88
        .size:           8
        .value_kind:     by_value
      - .offset:         96
        .size:           8
        .value_kind:     by_value
      - .offset:         104
        .size:           8
        .value_kind:     by_value
      - .offset:         112
        .size:           4
        .value_kind:     by_value
      - .offset:         120
        .size:           4
        .value_kind:     hidden_block_count_x
      - .offset:         124
        .size:           4
        .value_kind:     hidden_block_count_y
      - .offset:         128
        .size:           4
        .value_kind:     hidden_block_count_z
      - .offset:         132
        .size:           2
        .value_kind:     hidden_group_size_x
      - .offset:         134
        .size:           2
        .value_kind:     hidden_group_size_y
      - .offset:         136
        .size:           2
        .value_kind:     hidden_group_size_z
      - .offset:         138
        .size:           2
        .value_kind:     hidden_remainder_x
      - .offset:         140
        .size:           2
        .value_kind:     hidden_remainder_y
      - .offset:         142
        .size:           2
        .value_kind:     hidden_remainder_z
      - .offset:         160
        .size:           8
        .value_kind:     hidden_global_offset_x
      - .offset:         168
        .size:           8
        .value_kind:     hidden_global_offset_y
      - .offset:         176
        .size:           8
        .value_kind:     hidden_global_offset_z
      - .offset:         184
        .size:           2
        .value_kind:     hidden_grid_dims
    .group_segment_fixed_size: 0
    .kernarg_segment_align: 8
    .kernarg_segment_size: 376
    .language:       OpenCL C
    .language_version:
      - 2
      - 0
    .max_flat_workgroup_size: 1024
    .name:           _ZL19rocblas_syr2_kernelILi128ELi8ELi2EPKfPKS1_PKPfEvbiT2_T3_lllS8_lllT4_llli
    .private_segment_fixed_size: 0
    .sgpr_count:     32
    .sgpr_spill_count: 0
    .symbol:         _ZL19rocblas_syr2_kernelILi128ELi8ELi2EPKfPKS1_PKPfEvbiT2_T3_lllS8_lllT4_llli.kd
    .uniform_work_group_size: 1
    .uses_dynamic_stack: false
    .vgpr_count:     31
    .vgpr_spill_count: 0
    .wavefront_size: 32
  - .args:
      - .offset:         0
        .size:           1
        .value_kind:     by_value
      - .offset:         4
        .size:           4
        .value_kind:     by_value
      - .offset:         8
        .size:           4
        .value_kind:     by_value
      - .address_space:  global
        .offset:         16
        .size:           8
        .value_kind:     global_buffer
      - .offset:         24
        .size:           8
        .value_kind:     by_value
      - .offset:         32
        .size:           8
        .value_kind:     by_value
      - .offset:         40
        .size:           8
        .value_kind:     by_value
      - .address_space:  global
        .offset:         48
        .size:           8
        .value_kind:     global_buffer
      - .offset:         56
        .size:           8
        .value_kind:     by_value
      - .offset:         64
        .size:           8
        .value_kind:     by_value
      - .offset:         72
        .size:           8
        .value_kind:     by_value
      - .address_space:  global
        .offset:         80
        .size:           8
        .value_kind:     global_buffer
      - .offset:         88
        .size:           8
        .value_kind:     by_value
      - .offset:         96
        .size:           8
        .value_kind:     by_value
      - .offset:         104
        .size:           8
        .value_kind:     by_value
      - .offset:         112
        .size:           4
        .value_kind:     by_value
      - .offset:         120
        .size:           4
        .value_kind:     hidden_block_count_x
      - .offset:         124
        .size:           4
        .value_kind:     hidden_block_count_y
      - .offset:         128
        .size:           4
        .value_kind:     hidden_block_count_z
      - .offset:         132
        .size:           2
        .value_kind:     hidden_group_size_x
      - .offset:         134
        .size:           2
        .value_kind:     hidden_group_size_y
      - .offset:         136
        .size:           2
        .value_kind:     hidden_group_size_z
      - .offset:         138
        .size:           2
        .value_kind:     hidden_remainder_x
      - .offset:         140
        .size:           2
        .value_kind:     hidden_remainder_y
      - .offset:         142
        .size:           2
        .value_kind:     hidden_remainder_z
      - .offset:         160
        .size:           8
        .value_kind:     hidden_global_offset_x
      - .offset:         168
        .size:           8
        .value_kind:     hidden_global_offset_y
      - .offset:         176
        .size:           8
        .value_kind:     hidden_global_offset_z
      - .offset:         184
        .size:           2
        .value_kind:     hidden_grid_dims
    .group_segment_fixed_size: 0
    .kernarg_segment_align: 8
    .kernarg_segment_size: 376
    .language:       OpenCL C
    .language_version:
      - 2
      - 0
    .max_flat_workgroup_size: 1024
    .name:           _ZL19rocblas_syr2_kernelILi128ELi8ELi2EfPKPKfPKPfEvbiT2_T3_lllS8_lllT4_llli
    .private_segment_fixed_size: 0
    .sgpr_count:     32
    .sgpr_spill_count: 0
    .symbol:         _ZL19rocblas_syr2_kernelILi128ELi8ELi2EfPKPKfPKPfEvbiT2_T3_lllS8_lllT4_llli.kd
    .uniform_work_group_size: 1
    .uses_dynamic_stack: false
    .vgpr_count:     31
    .vgpr_spill_count: 0
    .wavefront_size: 32
  - .args:
      - .offset:         0
        .size:           1
        .value_kind:     by_value
      - .offset:         4
        .size:           4
        .value_kind:     by_value
      - .address_space:  global
        .offset:         8
        .size:           8
        .value_kind:     global_buffer
      - .address_space:  global
        .offset:         16
        .size:           8
        .value_kind:     global_buffer
      - .offset:         24
        .size:           8
        .value_kind:     by_value
      - .offset:         32
        .size:           8
        .value_kind:     by_value
      - .offset:         40
        .size:           8
        .value_kind:     by_value
      - .address_space:  global
        .offset:         48
        .size:           8
        .value_kind:     global_buffer
      - .offset:         56
        .size:           8
        .value_kind:     by_value
      - .offset:         64
        .size:           8
        .value_kind:     by_value
      - .offset:         72
        .size:           8
        .value_kind:     by_value
      - .address_space:  global
        .offset:         80
        .size:           8
        .value_kind:     global_buffer
      - .offset:         88
        .size:           8
        .value_kind:     by_value
      - .offset:         96
        .size:           8
        .value_kind:     by_value
      - .offset:         104
        .size:           8
        .value_kind:     by_value
      - .offset:         112
        .size:           4
        .value_kind:     by_value
      - .offset:         120
        .size:           4
        .value_kind:     hidden_block_count_x
      - .offset:         124
        .size:           4
        .value_kind:     hidden_block_count_y
      - .offset:         128
        .size:           4
        .value_kind:     hidden_block_count_z
      - .offset:         132
        .size:           2
        .value_kind:     hidden_group_size_x
      - .offset:         134
        .size:           2
        .value_kind:     hidden_group_size_y
      - .offset:         136
        .size:           2
        .value_kind:     hidden_group_size_z
      - .offset:         138
        .size:           2
        .value_kind:     hidden_remainder_x
      - .offset:         140
        .size:           2
        .value_kind:     hidden_remainder_y
      - .offset:         142
        .size:           2
        .value_kind:     hidden_remainder_z
      - .offset:         160
        .size:           8
        .value_kind:     hidden_global_offset_x
      - .offset:         168
        .size:           8
        .value_kind:     hidden_global_offset_y
      - .offset:         176
        .size:           8
        .value_kind:     hidden_global_offset_z
      - .offset:         184
        .size:           2
        .value_kind:     hidden_grid_dims
    .group_segment_fixed_size: 0
    .kernarg_segment_align: 8
    .kernarg_segment_size: 376
    .language:       OpenCL C
    .language_version:
      - 2
      - 0
    .max_flat_workgroup_size: 1024
    .name:           _ZL19rocblas_syr2_kernelILi128ELi8ELi1EPKdPKS1_PKPdEvbiT2_T3_lllS8_lllT4_llli
    .private_segment_fixed_size: 0
    .sgpr_count:     33
    .sgpr_spill_count: 0
    .symbol:         _ZL19rocblas_syr2_kernelILi128ELi8ELi1EPKdPKS1_PKPdEvbiT2_T3_lllS8_lllT4_llli.kd
    .uniform_work_group_size: 1
    .uses_dynamic_stack: false
    .vgpr_count:     24
    .vgpr_spill_count: 0
    .wavefront_size: 32
  - .args:
      - .offset:         0
        .size:           1
        .value_kind:     by_value
      - .offset:         4
        .size:           4
        .value_kind:     by_value
      - .offset:         8
        .size:           8
        .value_kind:     by_value
      - .address_space:  global
        .offset:         16
        .size:           8
        .value_kind:     global_buffer
      - .offset:         24
        .size:           8
        .value_kind:     by_value
      - .offset:         32
        .size:           8
        .value_kind:     by_value
      - .offset:         40
        .size:           8
        .value_kind:     by_value
      - .address_space:  global
        .offset:         48
        .size:           8
        .value_kind:     global_buffer
      - .offset:         56
        .size:           8
        .value_kind:     by_value
      - .offset:         64
        .size:           8
        .value_kind:     by_value
      - .offset:         72
        .size:           8
        .value_kind:     by_value
      - .address_space:  global
        .offset:         80
        .size:           8
        .value_kind:     global_buffer
      - .offset:         88
        .size:           8
        .value_kind:     by_value
      - .offset:         96
        .size:           8
        .value_kind:     by_value
      - .offset:         104
        .size:           8
        .value_kind:     by_value
      - .offset:         112
        .size:           4
        .value_kind:     by_value
      - .offset:         120
        .size:           4
        .value_kind:     hidden_block_count_x
      - .offset:         124
        .size:           4
        .value_kind:     hidden_block_count_y
      - .offset:         128
        .size:           4
        .value_kind:     hidden_block_count_z
      - .offset:         132
        .size:           2
        .value_kind:     hidden_group_size_x
      - .offset:         134
        .size:           2
        .value_kind:     hidden_group_size_y
      - .offset:         136
        .size:           2
        .value_kind:     hidden_group_size_z
      - .offset:         138
        .size:           2
        .value_kind:     hidden_remainder_x
      - .offset:         140
        .size:           2
        .value_kind:     hidden_remainder_y
      - .offset:         142
        .size:           2
        .value_kind:     hidden_remainder_z
      - .offset:         160
        .size:           8
        .value_kind:     hidden_global_offset_x
      - .offset:         168
        .size:           8
        .value_kind:     hidden_global_offset_y
      - .offset:         176
        .size:           8
        .value_kind:     hidden_global_offset_z
      - .offset:         184
        .size:           2
        .value_kind:     hidden_grid_dims
    .group_segment_fixed_size: 0
    .kernarg_segment_align: 8
    .kernarg_segment_size: 376
    .language:       OpenCL C
    .language_version:
      - 2
      - 0
    .max_flat_workgroup_size: 1024
    .name:           _ZL19rocblas_syr2_kernelILi128ELi8ELi1EdPKPKdPKPdEvbiT2_T3_lllS8_lllT4_llli
    .private_segment_fixed_size: 0
    .sgpr_count:     33
    .sgpr_spill_count: 0
    .symbol:         _ZL19rocblas_syr2_kernelILi128ELi8ELi1EdPKPKdPKPdEvbiT2_T3_lllS8_lllT4_llli.kd
    .uniform_work_group_size: 1
    .uses_dynamic_stack: false
    .vgpr_count:     24
    .vgpr_spill_count: 0
    .wavefront_size: 32
  - .args:
      - .offset:         0
        .size:           1
        .value_kind:     by_value
      - .offset:         4
        .size:           4
        .value_kind:     by_value
      - .address_space:  global
        .offset:         8
        .size:           8
        .value_kind:     global_buffer
      - .address_space:  global
        .offset:         16
        .size:           8
        .value_kind:     global_buffer
      - .offset:         24
        .size:           8
        .value_kind:     by_value
      - .offset:         32
        .size:           8
        .value_kind:     by_value
      - .offset:         40
        .size:           8
        .value_kind:     by_value
      - .address_space:  global
        .offset:         48
        .size:           8
        .value_kind:     global_buffer
      - .offset:         56
        .size:           8
        .value_kind:     by_value
      - .offset:         64
        .size:           8
        .value_kind:     by_value
      - .offset:         72
        .size:           8
        .value_kind:     by_value
      - .address_space:  global
        .offset:         80
        .size:           8
        .value_kind:     global_buffer
      - .offset:         88
        .size:           8
        .value_kind:     by_value
      - .offset:         96
        .size:           8
        .value_kind:     by_value
      - .offset:         104
        .size:           8
        .value_kind:     by_value
      - .offset:         112
        .size:           4
        .value_kind:     by_value
      - .offset:         120
        .size:           4
        .value_kind:     hidden_block_count_x
      - .offset:         124
        .size:           4
        .value_kind:     hidden_block_count_y
      - .offset:         128
        .size:           4
        .value_kind:     hidden_block_count_z
      - .offset:         132
        .size:           2
        .value_kind:     hidden_group_size_x
      - .offset:         134
        .size:           2
        .value_kind:     hidden_group_size_y
      - .offset:         136
        .size:           2
        .value_kind:     hidden_group_size_z
      - .offset:         138
        .size:           2
        .value_kind:     hidden_remainder_x
      - .offset:         140
        .size:           2
        .value_kind:     hidden_remainder_y
      - .offset:         142
        .size:           2
        .value_kind:     hidden_remainder_z
      - .offset:         160
        .size:           8
        .value_kind:     hidden_global_offset_x
      - .offset:         168
        .size:           8
        .value_kind:     hidden_global_offset_y
      - .offset:         176
        .size:           8
        .value_kind:     hidden_global_offset_z
      - .offset:         184
        .size:           2
        .value_kind:     hidden_grid_dims
    .group_segment_fixed_size: 0
    .kernarg_segment_align: 8
    .kernarg_segment_size: 376
    .language:       OpenCL C
    .language_version:
      - 2
      - 0
    .max_flat_workgroup_size: 1024
    .name:           _ZL19rocblas_syr2_kernelILi128ELi8ELi1EPK19rocblas_complex_numIfEPKS3_PKPS1_EvbiT2_T3_lllSA_lllT4_llli
    .private_segment_fixed_size: 0
    .sgpr_count:     33
    .sgpr_spill_count: 0
    .symbol:         _ZL19rocblas_syr2_kernelILi128ELi8ELi1EPK19rocblas_complex_numIfEPKS3_PKPS1_EvbiT2_T3_lllSA_lllT4_llli.kd
    .uniform_work_group_size: 1
    .uses_dynamic_stack: false
    .vgpr_count:     32
    .vgpr_spill_count: 0
    .wavefront_size: 32
  - .args:
      - .offset:         0
        .size:           1
        .value_kind:     by_value
      - .offset:         4
        .size:           4
        .value_kind:     by_value
      - .offset:         8
        .size:           8
        .value_kind:     by_value
      - .address_space:  global
        .offset:         16
        .size:           8
        .value_kind:     global_buffer
      - .offset:         24
        .size:           8
        .value_kind:     by_value
      - .offset:         32
        .size:           8
        .value_kind:     by_value
      - .offset:         40
        .size:           8
        .value_kind:     by_value
      - .address_space:  global
        .offset:         48
        .size:           8
        .value_kind:     global_buffer
      - .offset:         56
        .size:           8
        .value_kind:     by_value
      - .offset:         64
        .size:           8
        .value_kind:     by_value
      - .offset:         72
        .size:           8
        .value_kind:     by_value
      - .address_space:  global
        .offset:         80
        .size:           8
        .value_kind:     global_buffer
      - .offset:         88
        .size:           8
        .value_kind:     by_value
      - .offset:         96
        .size:           8
        .value_kind:     by_value
      - .offset:         104
        .size:           8
        .value_kind:     by_value
      - .offset:         112
        .size:           4
        .value_kind:     by_value
      - .offset:         120
        .size:           4
        .value_kind:     hidden_block_count_x
      - .offset:         124
        .size:           4
        .value_kind:     hidden_block_count_y
      - .offset:         128
        .size:           4
        .value_kind:     hidden_block_count_z
      - .offset:         132
        .size:           2
        .value_kind:     hidden_group_size_x
      - .offset:         134
        .size:           2
        .value_kind:     hidden_group_size_y
      - .offset:         136
        .size:           2
        .value_kind:     hidden_group_size_z
      - .offset:         138
        .size:           2
        .value_kind:     hidden_remainder_x
      - .offset:         140
        .size:           2
        .value_kind:     hidden_remainder_y
      - .offset:         142
        .size:           2
        .value_kind:     hidden_remainder_z
      - .offset:         160
        .size:           8
        .value_kind:     hidden_global_offset_x
      - .offset:         168
        .size:           8
        .value_kind:     hidden_global_offset_y
      - .offset:         176
        .size:           8
        .value_kind:     hidden_global_offset_z
      - .offset:         184
        .size:           2
        .value_kind:     hidden_grid_dims
    .group_segment_fixed_size: 0
    .kernarg_segment_align: 8
    .kernarg_segment_size: 376
    .language:       OpenCL C
    .language_version:
      - 2
      - 0
    .max_flat_workgroup_size: 1024
    .name:           _ZL19rocblas_syr2_kernelILi128ELi8ELi1E19rocblas_complex_numIfEPKPKS1_PKPS1_EvbiT2_T3_lllSA_lllT4_llli
    .private_segment_fixed_size: 0
    .sgpr_count:     29
    .sgpr_spill_count: 0
    .symbol:         _ZL19rocblas_syr2_kernelILi128ELi8ELi1E19rocblas_complex_numIfEPKPKS1_PKPS1_EvbiT2_T3_lllSA_lllT4_llli.kd
    .uniform_work_group_size: 1
    .uses_dynamic_stack: false
    .vgpr_count:     32
    .vgpr_spill_count: 0
    .wavefront_size: 32
  - .args:
      - .offset:         0
        .size:           1
        .value_kind:     by_value
      - .offset:         4
        .size:           4
        .value_kind:     by_value
      - .address_space:  global
        .offset:         8
        .size:           8
        .value_kind:     global_buffer
      - .address_space:  global
        .offset:         16
        .size:           8
        .value_kind:     global_buffer
      - .offset:         24
        .size:           8
        .value_kind:     by_value
      - .offset:         32
        .size:           8
        .value_kind:     by_value
      - .offset:         40
        .size:           8
        .value_kind:     by_value
      - .address_space:  global
        .offset:         48
        .size:           8
        .value_kind:     global_buffer
      - .offset:         56
        .size:           8
        .value_kind:     by_value
      - .offset:         64
        .size:           8
        .value_kind:     by_value
      - .offset:         72
        .size:           8
        .value_kind:     by_value
      - .address_space:  global
        .offset:         80
        .size:           8
        .value_kind:     global_buffer
      - .offset:         88
        .size:           8
        .value_kind:     by_value
      - .offset:         96
        .size:           8
        .value_kind:     by_value
      - .offset:         104
        .size:           8
        .value_kind:     by_value
      - .offset:         112
        .size:           4
        .value_kind:     by_value
      - .offset:         120
        .size:           4
        .value_kind:     hidden_block_count_x
      - .offset:         124
        .size:           4
        .value_kind:     hidden_block_count_y
      - .offset:         128
        .size:           4
        .value_kind:     hidden_block_count_z
      - .offset:         132
        .size:           2
        .value_kind:     hidden_group_size_x
      - .offset:         134
        .size:           2
        .value_kind:     hidden_group_size_y
      - .offset:         136
        .size:           2
        .value_kind:     hidden_group_size_z
      - .offset:         138
        .size:           2
        .value_kind:     hidden_remainder_x
      - .offset:         140
        .size:           2
        .value_kind:     hidden_remainder_y
      - .offset:         142
        .size:           2
        .value_kind:     hidden_remainder_z
      - .offset:         160
        .size:           8
        .value_kind:     hidden_global_offset_x
      - .offset:         168
        .size:           8
        .value_kind:     hidden_global_offset_y
      - .offset:         176
        .size:           8
        .value_kind:     hidden_global_offset_z
      - .offset:         184
        .size:           2
        .value_kind:     hidden_grid_dims
    .group_segment_fixed_size: 0
    .kernarg_segment_align: 8
    .kernarg_segment_size: 376
    .language:       OpenCL C
    .language_version:
      - 2
      - 0
    .max_flat_workgroup_size: 1024
    .name:           _ZL19rocblas_syr2_kernelILi128ELi8ELi1EPK19rocblas_complex_numIdEPKS3_PKPS1_EvbiT2_T3_lllSA_lllT4_llli
    .private_segment_fixed_size: 0
    .sgpr_count:     36
    .sgpr_spill_count: 0
    .symbol:         _ZL19rocblas_syr2_kernelILi128ELi8ELi1EPK19rocblas_complex_numIdEPKS3_PKPS1_EvbiT2_T3_lllSA_lllT4_llli.kd
    .uniform_work_group_size: 1
    .uses_dynamic_stack: false
    .vgpr_count:     38
    .vgpr_spill_count: 0
    .wavefront_size: 32
  - .args:
      - .offset:         0
        .size:           1
        .value_kind:     by_value
      - .offset:         4
        .size:           4
        .value_kind:     by_value
      - .offset:         8
        .size:           16
        .value_kind:     by_value
      - .address_space:  global
        .offset:         24
        .size:           8
        .value_kind:     global_buffer
      - .offset:         32
        .size:           8
        .value_kind:     by_value
      - .offset:         40
        .size:           8
        .value_kind:     by_value
      - .offset:         48
        .size:           8
        .value_kind:     by_value
      - .address_space:  global
        .offset:         56
        .size:           8
        .value_kind:     global_buffer
      - .offset:         64
        .size:           8
        .value_kind:     by_value
      - .offset:         72
        .size:           8
        .value_kind:     by_value
      - .offset:         80
        .size:           8
        .value_kind:     by_value
      - .address_space:  global
        .offset:         88
        .size:           8
        .value_kind:     global_buffer
      - .offset:         96
        .size:           8
        .value_kind:     by_value
      - .offset:         104
        .size:           8
        .value_kind:     by_value
      - .offset:         112
        .size:           8
        .value_kind:     by_value
      - .offset:         120
        .size:           4
        .value_kind:     by_value
      - .offset:         128
        .size:           4
        .value_kind:     hidden_block_count_x
      - .offset:         132
        .size:           4
        .value_kind:     hidden_block_count_y
      - .offset:         136
        .size:           4
        .value_kind:     hidden_block_count_z
      - .offset:         140
        .size:           2
        .value_kind:     hidden_group_size_x
      - .offset:         142
        .size:           2
        .value_kind:     hidden_group_size_y
      - .offset:         144
        .size:           2
        .value_kind:     hidden_group_size_z
      - .offset:         146
        .size:           2
        .value_kind:     hidden_remainder_x
      - .offset:         148
        .size:           2
        .value_kind:     hidden_remainder_y
      - .offset:         150
        .size:           2
        .value_kind:     hidden_remainder_z
      - .offset:         168
        .size:           8
        .value_kind:     hidden_global_offset_x
      - .offset:         176
        .size:           8
        .value_kind:     hidden_global_offset_y
      - .offset:         184
        .size:           8
        .value_kind:     hidden_global_offset_z
      - .offset:         192
        .size:           2
        .value_kind:     hidden_grid_dims
    .group_segment_fixed_size: 0
    .kernarg_segment_align: 8
    .kernarg_segment_size: 384
    .language:       OpenCL C
    .language_version:
      - 2
      - 0
    .max_flat_workgroup_size: 1024
    .name:           _ZL19rocblas_syr2_kernelILi128ELi8ELi1E19rocblas_complex_numIdEPKPKS1_PKPS1_EvbiT2_T3_lllSA_lllT4_llli
    .private_segment_fixed_size: 0
    .sgpr_count:     31
    .sgpr_spill_count: 0
    .symbol:         _ZL19rocblas_syr2_kernelILi128ELi8ELi1E19rocblas_complex_numIdEPKPKS1_PKPS1_EvbiT2_T3_lllSA_lllT4_llli.kd
    .uniform_work_group_size: 1
    .uses_dynamic_stack: false
    .vgpr_count:     38
    .vgpr_spill_count: 0
    .wavefront_size: 32
amdhsa.target:   amdgcn-amd-amdhsa--gfx1250
amdhsa.version:
  - 1
  - 2
...

	.end_amdgpu_metadata
